;; amdgpu-corpus repo=ROCm/rocFFT kind=compiled arch=gfx950 opt=O3
	.text
	.amdgcn_target "amdgcn-amd-amdhsa--gfx950"
	.amdhsa_code_object_version 6
	.protected	bluestein_single_back_len1650_dim1_dp_op_CI_CI ; -- Begin function bluestein_single_back_len1650_dim1_dp_op_CI_CI
	.globl	bluestein_single_back_len1650_dim1_dp_op_CI_CI
	.p2align	8
	.type	bluestein_single_back_len1650_dim1_dp_op_CI_CI,@function
bluestein_single_back_len1650_dim1_dp_op_CI_CI: ; @bluestein_single_back_len1650_dim1_dp_op_CI_CI
; %bb.0:
	s_load_dwordx4 s[4:7], s[0:1], 0x28
	v_mul_u32_u24_e32 v1, 0x254, v0
	v_mov_b32_e32 v195, 0
	v_add_u32_sdwa v6, s2, v1 dst_sel:DWORD dst_unused:UNUSED_PAD src0_sel:DWORD src1_sel:WORD_1
	v_mov_b32_e32 v7, v195
	s_waitcnt lgkmcnt(0)
	v_cmp_gt_u64_e32 vcc, s[4:5], v[6:7]
	s_and_saveexec_b64 s[2:3], vcc
	s_cbranch_execz .LBB0_23
; %bb.1:
	s_load_dwordx4 s[12:15], s[0:1], 0x18
	s_load_dwordx2 s[16:17], s[0:1], 0x0
	s_movk_i32 s2, 0x6e
	v_mul_lo_u16_sdwa v1, v1, s2 dst_sel:DWORD dst_unused:UNUSED_PAD src0_sel:WORD_1 src1_sel:DWORD
	v_sub_u16_e32 v194, v0, v1
	s_waitcnt lgkmcnt(0)
	s_load_dwordx4 s[8:11], s[12:13], 0x0
	v_accvgpr_write_b32 a2, v6
	v_mov_b32_e32 v2, s6
	v_mov_b32_e32 v3, s7
	v_lshlrev_b32_e32 v64, 4, v194
	s_waitcnt lgkmcnt(0)
	v_mad_u64_u32 v[0:1], s[2:3], s10, v6, 0
	v_mov_b32_e32 v4, v1
	v_mad_u64_u32 v[4:5], s[2:3], s11, v6, v[4:5]
	v_mov_b32_e32 v1, v4
	v_mad_u64_u32 v[4:5], s[2:3], s8, v194, 0
	v_mov_b32_e32 v6, v5
	v_mad_u64_u32 v[6:7], s[2:3], s9, v194, v[6:7]
	s_mul_i32 s2, s9, 0x96
	s_mul_hi_u32 s3, s8, 0x96
	v_mov_b32_e32 v5, v6
	v_lshl_add_u64 v[0:1], v[0:1], 4, v[2:3]
	s_add_i32 s3, s3, s2
	s_mul_i32 s2, s8, 0x96
	v_lshl_add_u64 v[8:9], v[4:5], 4, v[0:1]
	v_mov_b32_e32 v65, v195
	s_lshl_b64 s[12:13], s[2:3], 4
	v_lshl_add_u64 v[54:55], s[16:17], 0, v[64:65]
	v_lshl_add_u64 v[10:11], v[8:9], 0, s[12:13]
	s_movk_i32 s2, 0x1000
	global_load_dwordx4 v[4:7], v[8:9], off
	global_load_dwordx4 v[0:3], v[10:11], off
	global_load_dwordx4 v[60:63], v64, s[16:17]
	global_load_dwordx4 v[66:69], v64, s[16:17] offset:2400
	v_lshl_add_u64 v[12:13], v[10:11], 0, s[12:13]
	v_add_co_u32_e32 v16, vcc, s2, v54
	global_load_dwordx4 v[8:11], v[12:13], off
	s_nop 0
	v_addc_co_u32_e32 v17, vcc, 0, v55, vcc
	global_load_dwordx4 v[86:89], v[16:17], off offset:704
	global_load_dwordx4 v[74:77], v[16:17], off offset:3104
	v_lshl_add_u64 v[12:13], v[12:13], 0, s[12:13]
	v_lshl_add_u64 v[14:15], v[12:13], 0, s[12:13]
	global_load_dwordx4 v[26:29], v[12:13], off
	global_load_dwordx4 v[30:33], v[14:15], off
	s_movk_i32 s2, 0x2000
	v_add_co_u32_e32 v18, vcc, s2, v54
	v_lshl_add_u64 v[12:13], v[14:15], 0, s[12:13]
	s_nop 0
	v_addc_co_u32_e32 v19, vcc, 0, v55, vcc
	global_load_dwordx4 v[34:37], v[12:13], off
	global_load_dwordx4 v[98:101], v[18:19], off offset:1408
	global_load_dwordx4 v[78:81], v[18:19], off offset:3808
	s_movk_i32 s2, 0x3000
	v_add_co_u32_e32 v20, vcc, s2, v54
	v_lshl_add_u64 v[12:13], v[12:13], 0, s[12:13]
	s_nop 0
	v_addc_co_u32_e32 v21, vcc, 0, v55, vcc
	global_load_dwordx4 v[38:41], v[12:13], off
	global_load_dwordx4 v[70:73], v[20:21], off offset:2112
	v_lshl_add_u64 v[12:13], v[12:13], 0, s[12:13]
	s_movk_i32 s2, 0x4000
	global_load_dwordx4 v[42:45], v[12:13], off
	v_add_co_u32_e32 v22, vcc, s2, v54
	s_movk_i32 s2, 0x5000
	s_nop 0
	v_addc_co_u32_e32 v23, vcc, 0, v55, vcc
	v_lshl_add_u64 v[12:13], v[12:13], 0, s[12:13]
	global_load_dwordx4 v[102:105], v[22:23], off offset:416
	global_load_dwordx4 v[46:49], v[12:13], off
	global_load_dwordx4 v[82:85], v[22:23], off offset:2816
	v_add_co_u32_e32 v24, vcc, s2, v54
	v_lshl_add_u64 v[12:13], v[12:13], 0, s[12:13]
	s_nop 0
	v_addc_co_u32_e32 v25, vcc, 0, v55, vcc
	global_load_dwordx4 v[50:53], v[12:13], off
	global_load_dwordx4 v[90:93], v[24:25], off offset:1120
	v_accvgpr_write_b32 a0, v54
	v_accvgpr_write_b32 a1, v55
	v_lshl_add_u64 v[12:13], v[12:13], 0, s[12:13]
	global_load_dwordx4 v[94:97], v[24:25], off offset:3520
	global_load_dwordx4 v[54:57], v[12:13], off
	s_load_dwordx2 s[10:11], s[0:1], 0x38
	s_load_dwordx4 s[4:7], s[14:15], 0x0
	v_cmp_gt_u16_e32 vcc, 40, v194
	s_waitcnt vmcnt(19)
	v_mul_f64 v[58:59], v[6:7], v[62:63]
	v_mul_f64 v[14:15], v[4:5], v[62:63]
	v_accvgpr_write_b32 a32, v60
	v_fmac_f64_e32 v[58:59], v[4:5], v[60:61]
	v_accvgpr_write_b32 a33, v61
	v_accvgpr_write_b32 a34, v62
	;; [unrolled: 1-line block ×3, first 2 shown]
	v_fma_f64 v[60:61], v[6:7], v[60:61], -v[14:15]
	s_waitcnt vmcnt(18)
	v_mul_f64 v[4:5], v[2:3], v[68:69]
	v_mul_f64 v[6:7], v[0:1], v[68:69]
	v_fmac_f64_e32 v[4:5], v[0:1], v[66:67]
	v_fma_f64 v[6:7], v[2:3], v[66:67], -v[6:7]
	s_waitcnt vmcnt(16)
	v_mul_f64 v[0:1], v[10:11], v[88:89]
	v_mul_f64 v[2:3], v[8:9], v[88:89]
	v_fmac_f64_e32 v[0:1], v[8:9], v[86:87]
	v_fma_f64 v[2:3], v[10:11], v[86:87], -v[2:3]
	ds_write_b128 v64, v[0:3] offset:4800
	s_waitcnt vmcnt(14)
	v_mul_f64 v[0:1], v[28:29], v[76:77]
	v_mul_f64 v[2:3], v[26:27], v[76:77]
	v_fmac_f64_e32 v[0:1], v[26:27], v[74:75]
	v_fma_f64 v[2:3], v[28:29], v[74:75], -v[2:3]
	ds_write_b128 v64, v[0:3] offset:7200
	;; [unrolled: 6-line block ×7, first 2 shown]
	s_waitcnt vmcnt(2)
	v_mul_f64 v[0:1], v[52:53], v[92:93]
	v_mul_f64 v[2:3], v[50:51], v[92:93]
	v_fmac_f64_e32 v[0:1], v[50:51], v[90:91]
	v_fma_f64 v[2:3], v[52:53], v[90:91], -v[2:3]
	v_accvgpr_write_b32 a4, v66
	v_accvgpr_write_b32 a24, v86
	;; [unrolled: 1-line block ×9, first 2 shown]
	ds_write_b128 v64, v[0:3] offset:21600
	s_waitcnt vmcnt(0)
	v_mul_f64 v[0:1], v[56:57], v[96:97]
	v_mul_f64 v[2:3], v[54:55], v[96:97]
	v_accvgpr_write_b32 a36, v94
	v_accvgpr_write_b32 a5, v67
	;; [unrolled: 1-line block ×28, first 2 shown]
	v_fmac_f64_e32 v[0:1], v[54:55], v[94:95]
	v_accvgpr_write_b32 a37, v95
	v_accvgpr_write_b32 a38, v96
	;; [unrolled: 1-line block ×3, first 2 shown]
	v_fma_f64 v[2:3], v[56:57], v[94:95], -v[2:3]
	ds_write_b128 v64, v[58:61]
	ds_write_b128 v64, v[4:7] offset:2400
	ds_write_b128 v64, v[0:3] offset:24000
	s_and_saveexec_b64 s[14:15], vcc
	s_cbranch_execz .LBB0_3
; %bb.2:
	v_mov_b32_e32 v0, 0xffffa920
	v_mad_u64_u32 v[8:9], s[2:3], s8, v0, v[12:13]
	s_mul_i32 s2, s9, 0xffffa920
	s_sub_i32 s2, s2, s8
	v_accvgpr_read_b32 v67, a1
	v_add_u32_e32 v9, s2, v9
	v_accvgpr_read_b32 v66, a0
	global_load_dwordx4 v[0:3], v[8:9], off
	global_load_dwordx4 v[4:7], v[66:67], off offset:1760
	v_lshl_add_u64 v[26:27], v[8:9], 0, s[12:13]
	global_load_dwordx4 v[8:11], v[26:27], off
	global_load_dwordx4 v[12:15], v[16:17], off offset:64
	v_lshl_add_u64 v[38:39], v[26:27], 0, s[12:13]
	global_load_dwordx4 v[26:29], v[38:39], off
	global_load_dwordx4 v[30:33], v[16:17], off offset:2464
	global_load_dwordx4 v[34:37], v[18:19], off offset:768
	v_lshl_add_u64 v[16:17], v[38:39], 0, s[12:13]
	global_load_dwordx4 v[38:41], v[16:17], off
	v_lshl_add_u64 v[16:17], v[16:17], 0, s[12:13]
	v_lshl_add_u64 v[54:55], v[16:17], 0, s[12:13]
	global_load_dwordx4 v[42:45], v[16:17], off
	global_load_dwordx4 v[46:49], v[18:19], off offset:3168
	global_load_dwordx4 v[50:53], v[20:21], off offset:1472
	v_lshl_add_u64 v[62:63], v[54:55], 0, s[12:13]
	global_load_dwordx4 v[16:19], v[54:55], off
	s_nop 0
	global_load_dwordx4 v[54:57], v[62:63], off
	global_load_dwordx4 v[58:61], v[20:21], off offset:3872
	global_load_dwordx4 v[68:71], v[22:23], off offset:2176
	v_lshl_add_u64 v[62:63], v[62:63], 0, s[12:13]
	global_load_dwordx4 v[20:23], v[62:63], off
	global_load_dwordx4 v[72:75], v[24:25], off offset:480
	global_load_dwordx4 v[76:79], v[24:25], off offset:2880
	v_lshl_add_u64 v[24:25], v[62:63], 0, s[12:13]
	global_load_dwordx4 v[80:83], v[24:25], off
	s_movk_i32 s2, 0x6000
	v_lshl_add_u64 v[24:25], v[24:25], 0, s[12:13]
	global_load_dwordx4 v[84:87], v[24:25], off
	v_add_co_u32_e64 v62, s[2:3], s2, v66
	v_lshl_add_u64 v[24:25], v[24:25], 0, s[12:13]
	s_nop 0
	v_addc_co_u32_e64 v63, s[2:3], 0, v67, s[2:3]
	global_load_dwordx4 v[88:91], v[62:63], off offset:1184
	global_load_dwordx4 v[92:95], v[24:25], off
	s_waitcnt vmcnt(20)
	v_mul_f64 v[96:97], v[2:3], v[6:7]
	v_mul_f64 v[6:7], v[0:1], v[6:7]
	v_fmac_f64_e32 v[96:97], v[0:1], v[4:5]
	v_fma_f64 v[98:99], v[2:3], v[4:5], -v[6:7]
	s_waitcnt vmcnt(18)
	v_mul_f64 v[0:1], v[10:11], v[14:15]
	v_mul_f64 v[2:3], v[8:9], v[14:15]
	v_fmac_f64_e32 v[0:1], v[8:9], v[12:13]
	v_fma_f64 v[2:3], v[10:11], v[12:13], -v[2:3]
	s_waitcnt vmcnt(16)
	v_mul_f64 v[4:5], v[28:29], v[32:33]
	v_mul_f64 v[6:7], v[26:27], v[32:33]
	ds_write_b128 v64, v[0:3] offset:4160
	s_waitcnt vmcnt(14)
	v_mul_f64 v[0:1], v[40:41], v[36:37]
	v_mul_f64 v[2:3], v[38:39], v[36:37]
	v_fmac_f64_e32 v[4:5], v[26:27], v[30:31]
	v_fma_f64 v[6:7], v[28:29], v[30:31], -v[6:7]
	v_fmac_f64_e32 v[0:1], v[38:39], v[34:35]
	v_fma_f64 v[2:3], v[40:41], v[34:35], -v[2:3]
	ds_write_b128 v64, v[4:7] offset:6560
	s_waitcnt vmcnt(12)
	v_mul_f64 v[4:5], v[44:45], v[48:49]
	v_mul_f64 v[6:7], v[42:43], v[48:49]
	ds_write_b128 v64, v[0:3] offset:8960
	s_waitcnt vmcnt(10)
	v_mul_f64 v[0:1], v[18:19], v[52:53]
	v_mul_f64 v[2:3], v[16:17], v[52:53]
	v_fmac_f64_e32 v[4:5], v[42:43], v[46:47]
	v_fma_f64 v[6:7], v[44:45], v[46:47], -v[6:7]
	v_fmac_f64_e32 v[0:1], v[16:17], v[50:51]
	v_fma_f64 v[2:3], v[18:19], v[50:51], -v[2:3]
	ds_write_b128 v64, v[4:7] offset:11360
	;; [unrolled: 12-line block ×4, first 2 shown]
	s_waitcnt vmcnt(0)
	v_mul_f64 v[4:5], v[94:95], v[90:91]
	ds_write_b128 v64, v[0:3] offset:23360
	v_mul_f64 v[0:1], v[92:93], v[90:91]
	v_fmac_f64_e32 v[4:5], v[92:93], v[88:89]
	v_fma_f64 v[6:7], v[94:95], v[88:89], -v[0:1]
	ds_write_b128 v64, v[96:99] offset:1760
	ds_write_b128 v64, v[4:7] offset:25760
.LBB0_3:
	s_or_b64 exec, exec, s[14:15]
	s_waitcnt lgkmcnt(0)
	s_barrier
	ds_read_b128 v[20:23], v64
	ds_read_b128 v[28:31], v64 offset:2400
	ds_read_b128 v[16:19], v64 offset:4800
	;; [unrolled: 1-line block ×10, first 2 shown]
                                        ; implicit-def: $vgpr68_vgpr69
                                        ; implicit-def: $vgpr72_vgpr73
                                        ; implicit-def: $vgpr76_vgpr77
                                        ; implicit-def: $vgpr80_vgpr81
                                        ; implicit-def: $vgpr84_vgpr85
                                        ; implicit-def: $vgpr88_vgpr89
                                        ; implicit-def: $vgpr92_vgpr93
                                        ; implicit-def: $vgpr96_vgpr97
                                        ; implicit-def: $vgpr100_vgpr101
                                        ; implicit-def: $vgpr104_vgpr105
                                        ; implicit-def: $vgpr108_vgpr109
	s_and_saveexec_b64 s[2:3], vcc
	s_cbranch_execz .LBB0_5
; %bb.4:
	ds_read_b128 v[68:71], v64 offset:1760
	ds_read_b128 v[72:75], v64 offset:4160
	;; [unrolled: 1-line block ×11, first 2 shown]
.LBB0_5:
	s_or_b64 exec, exec, s[2:3]
	s_waitcnt lgkmcnt(9)
	v_add_f64 v[38:39], v[22:23], v[30:31]
	v_add_f64 v[36:37], v[20:21], v[28:29]
	s_waitcnt lgkmcnt(8)
	v_add_f64 v[38:39], v[38:39], v[18:19]
	v_add_f64 v[36:37], v[36:37], v[16:17]
	;; [unrolled: 3-line block ×7, first 2 shown]
	s_waitcnt lgkmcnt(2)
	v_add_f64 v[38:39], v[38:39], v[14:15]
	s_load_dwordx2 s[8:9], s[0:1], 0x8
	s_mov_b64 s[0:1], 0x6e
	v_add_f64 v[36:37], v[36:37], v[12:13]
	s_waitcnt lgkmcnt(0)
	v_add_f64 v[38:39], v[38:39], v[26:27]
	s_mov_b32 s24, 0xf8bb580b
	s_mov_b32 s36, 0x8eee2c13
	;; [unrolled: 1-line block ×5, first 2 shown]
	v_lshl_add_u64 v[40:41], v[194:195], 0, s[0:1]
	v_add_f64 v[36:37], v[36:37], v[24:25]
	v_add_f64 v[118:119], v[38:39], v[34:35]
	v_add_f64 v[38:39], v[30:31], v[34:35]
	v_add_f64 v[30:31], v[30:31], -v[34:35]
	s_mov_b32 s25, 0xbfe14ced
	s_mov_b32 s0, 0x8764f0ba
	;; [unrolled: 1-line block ×10, first 2 shown]
	v_add_f64 v[116:117], v[36:37], v[32:33]
	v_add_f64 v[36:37], v[28:29], v[32:33]
	v_add_f64 v[28:29], v[28:29], -v[32:33]
	v_mul_f64 v[32:33], v[30:31], s[24:25]
	s_mov_b32 s1, 0x3feaeb8c
	v_mul_f64 v[54:55], v[30:31], s[36:37]
	s_mov_b32 s3, 0x3fda9628
	;; [unrolled: 2-line block ×5, first 2 shown]
	v_fma_f64 v[34:35], v[36:37], s[0:1], -v[32:33]
	v_mul_f64 v[42:43], v[28:29], s[24:25]
	v_fmac_f64_e32 v[32:33], s[0:1], v[36:37]
	v_fma_f64 v[56:57], v[36:37], s[2:3], -v[54:55]
	v_mul_f64 v[58:59], v[28:29], s[36:37]
	v_fmac_f64_e32 v[54:55], s[2:3], v[36:37]
	;; [unrolled: 3-line block ×5, first 2 shown]
	v_add_f64 v[34:35], v[20:21], v[34:35]
	v_fma_f64 v[52:53], s[0:1], v[38:39], v[42:43]
	v_add_f64 v[32:33], v[20:21], v[32:33]
	v_fma_f64 v[42:43], v[38:39], s[0:1], -v[42:43]
	v_add_f64 v[56:57], v[20:21], v[56:57]
	v_fma_f64 v[60:61], s[2:3], v[38:39], v[58:59]
	v_add_f64 v[54:55], v[20:21], v[54:55]
	v_fma_f64 v[58:59], v[38:39], s[2:3], -v[58:59]
	;; [unrolled: 4-line block ×5, first 2 shown]
	v_add_f64 v[30:31], v[18:19], v[26:27]
	v_add_f64 v[18:19], v[18:19], -v[26:27]
	v_add_f64 v[52:53], v[22:23], v[52:53]
	v_add_f64 v[42:43], v[22:23], v[42:43]
	;; [unrolled: 1-line block ×11, first 2 shown]
	v_add_f64 v[16:17], v[16:17], -v[24:25]
	v_mul_f64 v[24:25], v[18:19], s[36:37]
	v_fma_f64 v[26:27], v[28:29], s[2:3], -v[24:25]
	v_add_f64 v[26:27], v[26:27], v[34:35]
	v_mul_f64 v[34:35], v[16:17], s[36:37]
	v_fmac_f64_e32 v[24:25], s[2:3], v[28:29]
	v_fma_f64 v[36:37], s[2:3], v[30:31], v[34:35]
	v_add_f64 v[24:25], v[24:25], v[32:33]
	v_fma_f64 v[32:33], v[30:31], s[2:3], -v[34:35]
	v_mul_f64 v[34:35], v[18:19], s[22:23]
	v_add_f64 v[32:33], v[32:33], v[42:43]
	v_fma_f64 v[38:39], v[28:29], s[14:15], -v[34:35]
	v_mul_f64 v[42:43], v[16:17], s[22:23]
	v_fmac_f64_e32 v[34:35], s[14:15], v[28:29]
	s_mov_b32 s39, 0x3fd207e7
	s_mov_b32 s38, s26
	v_add_f64 v[36:37], v[36:37], v[52:53]
	v_fma_f64 v[52:53], s[14:15], v[30:31], v[42:43]
	v_add_f64 v[34:35], v[34:35], v[54:55]
	v_fma_f64 v[42:43], v[30:31], s[14:15], -v[42:43]
	v_mul_f64 v[54:55], v[18:19], s[38:39]
	v_add_f64 v[38:39], v[38:39], v[56:57]
	v_add_f64 v[42:43], v[42:43], v[58:59]
	v_fma_f64 v[56:57], v[28:29], s[18:19], -v[54:55]
	v_mul_f64 v[58:59], v[16:17], s[38:39]
	v_fmac_f64_e32 v[54:55], s[18:19], v[28:29]
	s_mov_b32 s35, 0x3fefac9e
	s_mov_b32 s34, s20
	v_add_f64 v[52:53], v[52:53], v[60:61]
	v_fma_f64 v[60:61], s[18:19], v[30:31], v[58:59]
	v_add_f64 v[54:55], v[54:55], v[62:63]
	v_fma_f64 v[58:59], v[30:31], s[18:19], -v[58:59]
	v_mul_f64 v[62:63], v[18:19], s[34:35]
	s_mov_b32 s31, 0x3fe14ced
	s_mov_b32 s30, s24
	v_add_f64 v[56:57], v[56:57], v[112:113]
	v_add_f64 v[58:59], v[58:59], v[114:115]
	v_fma_f64 v[112:113], v[28:29], s[12:13], -v[62:63]
	v_mul_f64 v[114:115], v[16:17], s[34:35]
	v_mul_f64 v[16:17], v[16:17], s[30:31]
	v_add_f64 v[112:113], v[112:113], v[124:125]
	v_fmac_f64_e32 v[62:63], s[12:13], v[28:29]
	v_mul_f64 v[18:19], v[18:19], s[30:31]
	v_fma_f64 v[124:125], s[0:1], v[30:31], v[16:17]
	v_fma_f64 v[16:17], v[30:31], s[0:1], -v[16:17]
	v_add_f64 v[62:63], v[62:63], v[122:123]
	v_fma_f64 v[122:123], v[28:29], s[0:1], -v[18:19]
	v_fmac_f64_e32 v[18:19], s[0:1], v[28:29]
	v_add_f64 v[16:17], v[16:17], v[22:23]
	v_add_f64 v[22:23], v[10:11], v[14:15]
	v_add_f64 v[10:11], v[10:11], -v[14:15]
	v_add_f64 v[18:19], v[18:19], v[20:21]
	v_add_f64 v[20:21], v[8:9], v[12:13]
	v_add_f64 v[8:9], v[8:9], -v[12:13]
	v_mul_f64 v[12:13], v[10:11], s[20:21]
	v_fma_f64 v[14:15], v[20:21], s[12:13], -v[12:13]
	v_add_f64 v[14:15], v[14:15], v[26:27]
	v_mul_f64 v[26:27], v[8:9], s[20:21]
	v_fmac_f64_e32 v[12:13], s[12:13], v[20:21]
	v_fma_f64 v[28:29], s[12:13], v[22:23], v[26:27]
	v_add_f64 v[12:13], v[12:13], v[24:25]
	v_fma_f64 v[24:25], v[22:23], s[12:13], -v[26:27]
	v_mul_f64 v[26:27], v[10:11], s[38:39]
	v_add_f64 v[60:61], v[60:61], v[120:121]
	v_fma_f64 v[120:121], s[12:13], v[30:31], v[114:115]
	v_fma_f64 v[114:115], v[30:31], s[12:13], -v[114:115]
	v_add_f64 v[24:25], v[24:25], v[32:33]
	v_fma_f64 v[30:31], v[20:21], s[18:19], -v[26:27]
	v_mul_f64 v[32:33], v[8:9], s[38:39]
	v_fmac_f64_e32 v[26:27], s[18:19], v[20:21]
	s_mov_b32 s29, 0x3fed1bb4
	s_mov_b32 s28, s36
	v_add_f64 v[28:29], v[28:29], v[36:37]
	v_fma_f64 v[36:37], s[18:19], v[22:23], v[32:33]
	v_add_f64 v[26:27], v[26:27], v[34:35]
	v_fma_f64 v[32:33], v[22:23], s[18:19], -v[32:33]
	v_mul_f64 v[34:35], v[10:11], s[28:29]
	v_add_f64 v[30:31], v[30:31], v[38:39]
	v_add_f64 v[32:33], v[32:33], v[42:43]
	v_fma_f64 v[38:39], v[20:21], s[2:3], -v[34:35]
	v_mul_f64 v[42:43], v[8:9], s[28:29]
	v_fmac_f64_e32 v[34:35], s[2:3], v[20:21]
	v_add_f64 v[36:37], v[36:37], v[52:53]
	v_fma_f64 v[52:53], s[2:3], v[22:23], v[42:43]
	v_add_f64 v[34:35], v[34:35], v[54:55]
	v_fma_f64 v[42:43], v[22:23], s[2:3], -v[42:43]
	v_mul_f64 v[54:55], v[10:11], s[24:25]
	v_add_f64 v[38:39], v[38:39], v[56:57]
	v_add_f64 v[42:43], v[42:43], v[58:59]
	v_fma_f64 v[56:57], v[20:21], s[0:1], -v[54:55]
	v_mul_f64 v[58:59], v[8:9], s[24:25]
	v_mul_f64 v[8:9], v[8:9], s[22:23]
	v_add_f64 v[52:53], v[52:53], v[60:61]
	v_add_f64 v[56:57], v[56:57], v[112:113]
	v_fma_f64 v[60:61], s[0:1], v[22:23], v[58:59]
	v_fmac_f64_e32 v[54:55], s[0:1], v[20:21]
	v_fma_f64 v[58:59], v[22:23], s[0:1], -v[58:59]
	v_mul_f64 v[10:11], v[10:11], s[22:23]
	v_fma_f64 v[112:113], s[14:15], v[22:23], v[8:9]
	v_fma_f64 v[8:9], v[22:23], s[14:15], -v[8:9]
	v_add_f64 v[22:23], v[46:47], -v[50:51]
	v_add_f64 v[54:55], v[54:55], v[62:63]
	v_fma_f64 v[62:63], v[20:21], s[14:15], -v[10:11]
	v_fmac_f64_e32 v[10:11], s[14:15], v[20:21]
	v_add_f64 v[8:9], v[8:9], v[16:17]
	v_add_f64 v[16:17], v[44:45], v[48:49]
	v_add_f64 v[20:21], v[44:45], -v[48:49]
	v_mul_f64 v[44:45], v[22:23], s[22:23]
	v_add_f64 v[10:11], v[10:11], v[18:19]
	v_add_f64 v[18:19], v[46:47], v[50:51]
	v_fma_f64 v[46:47], v[16:17], s[14:15], -v[44:45]
	v_add_f64 v[14:15], v[46:47], v[14:15]
	v_mul_f64 v[46:47], v[20:21], s[22:23]
	v_fmac_f64_e32 v[44:45], s[14:15], v[16:17]
	v_add_f64 v[12:13], v[44:45], v[12:13]
	v_fma_f64 v[44:45], v[18:19], s[14:15], -v[46:47]
	v_add_f64 v[24:25], v[44:45], v[24:25]
	v_mul_f64 v[44:45], v[22:23], s[34:35]
	v_fma_f64 v[48:49], s[14:15], v[18:19], v[46:47]
	v_fma_f64 v[46:47], v[16:17], s[12:13], -v[44:45]
	v_add_f64 v[30:31], v[46:47], v[30:31]
	v_mul_f64 v[46:47], v[20:21], s[34:35]
	v_fmac_f64_e32 v[44:45], s[12:13], v[16:17]
	v_add_f64 v[26:27], v[44:45], v[26:27]
	v_fma_f64 v[44:45], v[18:19], s[12:13], -v[46:47]
	v_add_f64 v[32:33], v[44:45], v[32:33]
	v_mul_f64 v[44:45], v[22:23], s[24:25]
	v_add_f64 v[28:29], v[48:49], v[28:29]
	v_fma_f64 v[48:49], s[12:13], v[18:19], v[46:47]
	v_fma_f64 v[46:47], v[16:17], s[0:1], -v[44:45]
	v_add_f64 v[38:39], v[46:47], v[38:39]
	v_mul_f64 v[46:47], v[20:21], s[24:25]
	v_fmac_f64_e32 v[44:45], s[0:1], v[16:17]
	v_add_f64 v[34:35], v[44:45], v[34:35]
	v_fma_f64 v[44:45], v[18:19], s[0:1], -v[46:47]
	v_add_f64 v[42:43], v[44:45], v[42:43]
	v_mul_f64 v[44:45], v[22:23], s[26:27]
	v_add_f64 v[36:37], v[48:49], v[36:37]
	v_fma_f64 v[48:49], s[0:1], v[18:19], v[46:47]
	v_fma_f64 v[46:47], v[16:17], s[18:19], -v[44:45]
	v_mul_f64 v[50:51], v[20:21], s[26:27]
	v_fmac_f64_e32 v[44:45], s[18:19], v[16:17]
	v_mul_f64 v[22:23], v[22:23], s[28:29]
	v_mul_f64 v[20:21], v[20:21], s[28:29]
	v_add_f64 v[48:49], v[48:49], v[52:53]
	v_add_f64 v[46:47], v[46:47], v[56:57]
	v_fma_f64 v[52:53], s[18:19], v[18:19], v[50:51]
	v_add_f64 v[44:45], v[44:45], v[54:55]
	v_fma_f64 v[50:51], v[18:19], s[18:19], -v[50:51]
	v_fma_f64 v[54:55], v[16:17], s[2:3], -v[22:23]
	v_fma_f64 v[56:57], s[2:3], v[18:19], v[20:21]
	v_fmac_f64_e32 v[22:23], s[2:3], v[16:17]
	v_fma_f64 v[16:17], v[18:19], s[2:3], -v[20:21]
	v_add_f64 v[18:19], v[2:3], v[6:7]
	v_add_f64 v[2:3], v[2:3], -v[6:7]
	v_add_f64 v[8:9], v[16:17], v[8:9]
	v_add_f64 v[16:17], v[0:1], v[4:5]
	v_add_f64 v[0:1], v[0:1], -v[4:5]
	v_mul_f64 v[4:5], v[2:3], s[26:27]
	v_add_f64 v[124:125], v[124:125], v[132:133]
	v_fma_f64 v[6:7], v[16:17], s[18:19], -v[4:5]
	v_add_f64 v[112:113], v[112:113], v[124:125]
	v_add_f64 v[124:125], v[6:7], v[14:15]
	v_mul_f64 v[6:7], v[0:1], s[26:27]
	v_fmac_f64_e32 v[4:5], s[18:19], v[16:17]
	v_fma_f64 v[14:15], s[18:19], v[18:19], v[6:7]
	v_add_f64 v[4:5], v[4:5], v[12:13]
	v_mul_f64 v[12:13], v[2:3], s[30:31]
	v_add_f64 v[114:115], v[114:115], v[126:127]
	v_add_f64 v[126:127], v[14:15], v[28:29]
	v_fma_f64 v[14:15], v[16:17], s[0:1], -v[12:13]
	v_add_f64 v[120:121], v[120:121], v[128:129]
	v_add_f64 v[132:133], v[14:15], v[30:31]
	v_mul_f64 v[14:15], v[0:1], s[30:31]
	v_fmac_f64_e32 v[12:13], s[0:1], v[16:17]
	v_add_f64 v[122:123], v[122:123], v[130:131]
	v_add_f64 v[60:61], v[60:61], v[120:121]
	;; [unrolled: 1-line block ×3, first 2 shown]
	v_fma_f64 v[12:13], v[18:19], s[0:1], -v[14:15]
	v_add_f64 v[62:63], v[62:63], v[122:123]
	v_add_f64 v[122:123], v[12:13], v[32:33]
	v_mul_f64 v[12:13], v[2:3], s[22:23]
	v_fma_f64 v[20:21], s[0:1], v[18:19], v[14:15]
	v_fma_f64 v[14:15], v[16:17], s[14:15], -v[12:13]
	v_add_f64 v[136:137], v[14:15], v[38:39]
	v_mul_f64 v[14:15], v[0:1], s[22:23]
	v_fmac_f64_e32 v[12:13], s[14:15], v[16:17]
	v_add_f64 v[128:129], v[12:13], v[34:35]
	v_fma_f64 v[12:13], v[18:19], s[14:15], -v[14:15]
	v_add_f64 v[130:131], v[12:13], v[42:43]
	v_mul_f64 v[12:13], v[2:3], s[28:29]
	v_add_f64 v[134:135], v[20:21], v[36:37]
	v_fma_f64 v[20:21], s[14:15], v[18:19], v[14:15]
	v_fma_f64 v[14:15], v[16:17], s[2:3], -v[12:13]
	v_add_f64 v[58:59], v[58:59], v[114:115]
	v_add_f64 v[144:145], v[14:15], v[46:47]
	v_mul_f64 v[14:15], v[0:1], s[28:29]
	v_fmac_f64_e32 v[12:13], s[2:3], v[16:17]
	v_add_f64 v[50:51], v[50:51], v[58:59]
	v_add_f64 v[140:141], v[12:13], v[44:45]
	v_fma_f64 v[12:13], v[18:19], s[2:3], -v[14:15]
	v_mul_f64 v[2:3], v[2:3], s[20:21]
	v_add_f64 v[54:55], v[54:55], v[62:63]
	v_add_f64 v[10:11], v[22:23], v[10:11]
	;; [unrolled: 1-line block ×3, first 2 shown]
	v_fma_f64 v[12:13], v[16:17], s[12:13], -v[2:3]
	v_mul_f64 v[0:1], v[0:1], s[20:21]
	v_fmac_f64_e32 v[2:3], s[12:13], v[16:17]
	v_add_f64 v[148:149], v[12:13], v[54:55]
	v_fma_f64 v[12:13], s[12:13], v[18:19], v[0:1]
	v_add_f64 v[152:153], v[2:3], v[10:11]
	v_fma_f64 v[0:1], v[18:19], s[12:13], -v[0:1]
	v_add_f64 v[2:3], v[74:75], -v[110:111]
	v_add_f64 v[56:57], v[56:57], v[112:113]
	v_add_f64 v[154:155], v[0:1], v[8:9]
	;; [unrolled: 1-line block ×3, first 2 shown]
	v_add_f64 v[0:1], v[72:73], -v[108:109]
	v_mul_f64 v[8:9], v[2:3], s[24:25]
	v_fma_f64 v[6:7], v[18:19], s[18:19], -v[6:7]
	v_add_f64 v[138:139], v[20:21], v[48:49]
	v_fma_f64 v[20:21], s[2:3], v[18:19], v[14:15]
	v_add_f64 v[150:151], v[12:13], v[56:57]
	v_add_f64 v[18:19], v[74:75], v[110:111]
	v_mul_f64 v[10:11], v[0:1], s[24:25]
	v_fma_f64 v[12:13], s[0:1], v[16:17], v[8:9]
	v_add_f64 v[6:7], v[6:7], v[24:25]
	v_add_f64 v[24:25], v[68:69], v[12:13]
	v_fma_f64 v[12:13], v[18:19], s[0:1], -v[10:11]
	v_add_f64 v[52:53], v[52:53], v[60:61]
	v_add_f64 v[26:27], v[70:71], v[12:13]
	v_mul_f64 v[12:13], v[2:3], s[36:37]
	v_add_f64 v[146:147], v[20:21], v[52:53]
	v_mul_f64 v[14:15], v[0:1], s[36:37]
	v_fma_f64 v[20:21], s[2:3], v[16:17], v[12:13]
	v_add_f64 v[32:33], v[68:69], v[20:21]
	v_fma_f64 v[20:21], v[18:19], s[2:3], -v[14:15]
	v_add_f64 v[34:35], v[70:71], v[20:21]
	v_mul_f64 v[20:21], v[2:3], s[20:21]
	v_fma_f64 v[22:23], v[16:17], s[12:13], -v[20:21]
	v_add_f64 v[36:37], v[68:69], v[22:23]
	v_mul_f64 v[22:23], v[0:1], s[20:21]
	v_fmac_f64_e32 v[20:21], s[12:13], v[16:17]
	v_add_f64 v[42:43], v[68:69], v[20:21]
	v_fma_f64 v[20:21], v[18:19], s[12:13], -v[22:23]
	v_add_f64 v[44:45], v[70:71], v[20:21]
	v_mul_f64 v[20:21], v[2:3], s[22:23]
	v_fma_f64 v[28:29], s[12:13], v[18:19], v[22:23]
	v_fma_f64 v[22:23], v[16:17], s[14:15], -v[20:21]
	v_add_f64 v[46:47], v[68:69], v[22:23]
	v_mul_f64 v[22:23], v[0:1], s[22:23]
	v_fmac_f64_e32 v[20:21], s[14:15], v[16:17]
	v_add_f64 v[50:51], v[68:69], v[20:21]
	v_fma_f64 v[20:21], v[18:19], s[14:15], -v[22:23]
	v_mul_f64 v[2:3], v[2:3], s[26:27]
	v_add_f64 v[52:53], v[70:71], v[20:21]
	v_fma_f64 v[20:21], v[16:17], s[18:19], -v[2:3]
	v_mul_f64 v[0:1], v[0:1], s[26:27]
	v_add_f64 v[38:39], v[70:71], v[28:29]
	v_fma_f64 v[28:29], s[14:15], v[18:19], v[22:23]
	v_add_f64 v[54:55], v[68:69], v[20:21]
	v_fma_f64 v[20:21], s[18:19], v[18:19], v[0:1]
	v_add_f64 v[60:61], v[78:79], -v[106:107]
	v_add_f64 v[48:49], v[70:71], v[28:29]
	v_add_f64 v[56:57], v[70:71], v[20:21]
	;; [unrolled: 1-line block ×3, first 2 shown]
	v_add_f64 v[58:59], v[76:77], -v[104:105]
	v_mul_f64 v[20:21], v[60:61], s[36:37]
	v_add_f64 v[30:31], v[78:79], v[106:107]
	v_mul_f64 v[22:23], v[58:59], s[36:37]
	v_fma_f64 v[62:63], s[2:3], v[28:29], v[20:21]
	v_add_f64 v[62:63], v[62:63], v[24:25]
	v_fma_f64 v[24:25], v[30:31], s[2:3], -v[22:23]
	v_add_f64 v[112:113], v[24:25], v[26:27]
	v_mul_f64 v[24:25], v[60:61], s[22:23]
	v_mul_f64 v[26:27], v[58:59], s[22:23]
	v_fma_f64 v[114:115], s[14:15], v[28:29], v[24:25]
	v_add_f64 v[114:115], v[114:115], v[32:33]
	v_fma_f64 v[32:33], v[30:31], s[14:15], -v[26:27]
	v_add_f64 v[158:159], v[32:33], v[34:35]
	v_mul_f64 v[32:33], v[60:61], s[38:39]
	v_fma_f64 v[34:35], v[28:29], s[18:19], -v[32:33]
	v_add_f64 v[160:161], v[34:35], v[36:37]
	v_mul_f64 v[34:35], v[58:59], s[38:39]
	v_fmac_f64_e32 v[32:33], s[18:19], v[28:29]
	v_add_f64 v[164:165], v[32:33], v[42:43]
	v_fma_f64 v[32:33], v[30:31], s[18:19], -v[34:35]
	v_add_f64 v[44:45], v[32:33], v[44:45]
	v_mul_f64 v[32:33], v[60:61], s[34:35]
	v_fma_f64 v[36:37], s[18:19], v[30:31], v[34:35]
	v_fma_f64 v[34:35], v[28:29], s[12:13], -v[32:33]
	v_add_f64 v[46:47], v[34:35], v[46:47]
	v_mul_f64 v[34:35], v[58:59], s[34:35]
	v_fmac_f64_e32 v[32:33], s[12:13], v[28:29]
	v_add_f64 v[50:51], v[32:33], v[50:51]
	v_fma_f64 v[32:33], v[30:31], s[12:13], -v[34:35]
	v_add_f64 v[52:53], v[32:33], v[52:53]
	v_mul_f64 v[32:33], v[60:61], s[30:31]
	v_fmac_f64_e32 v[2:3], s[18:19], v[16:17]
	v_add_f64 v[162:163], v[36:37], v[38:39]
	v_fma_f64 v[36:37], s[12:13], v[30:31], v[34:35]
	v_fma_f64 v[34:35], v[28:29], s[0:1], -v[32:33]
	v_add_f64 v[2:3], v[68:69], v[2:3]
	v_fma_f64 v[0:1], v[18:19], s[18:19], -v[0:1]
	v_add_f64 v[54:55], v[34:35], v[54:55]
	v_mul_f64 v[34:35], v[58:59], s[30:31]
	v_fmac_f64_e32 v[32:33], s[0:1], v[28:29]
	v_add_f64 v[0:1], v[70:71], v[0:1]
	v_add_f64 v[2:3], v[32:33], v[2:3]
	v_fma_f64 v[32:33], v[30:31], s[0:1], -v[34:35]
	v_add_f64 v[60:61], v[82:83], -v[102:103]
	v_add_f64 v[48:49], v[36:37], v[48:49]
	v_fma_f64 v[36:37], s[0:1], v[30:31], v[34:35]
	v_add_f64 v[0:1], v[32:33], v[0:1]
	v_add_f64 v[42:43], v[80:81], v[100:101]
	v_add_f64 v[58:59], v[80:81], -v[100:101]
	v_mul_f64 v[32:33], v[60:61], s[20:21]
	v_add_f64 v[56:57], v[36:37], v[56:57]
	v_add_f64 v[156:157], v[82:83], v[102:103]
	v_mul_f64 v[34:35], v[58:59], s[20:21]
	v_fma_f64 v[36:37], s[12:13], v[42:43], v[32:33]
	v_add_f64 v[62:63], v[36:37], v[62:63]
	v_fma_f64 v[36:37], v[156:157], s[12:13], -v[34:35]
	v_add_f64 v[112:113], v[36:37], v[112:113]
	v_mul_f64 v[36:37], v[60:61], s[38:39]
	v_mul_f64 v[38:39], v[58:59], s[38:39]
	v_fma_f64 v[166:167], s[18:19], v[42:43], v[36:37]
	v_add_f64 v[114:115], v[166:167], v[114:115]
	v_fma_f64 v[166:167], v[156:157], s[18:19], -v[38:39]
	v_add_f64 v[170:171], v[166:167], v[158:159]
	v_mul_f64 v[158:159], v[60:61], s[28:29]
	v_fma_f64 v[166:167], v[42:43], s[2:3], -v[158:159]
	v_add_f64 v[172:173], v[166:167], v[160:161]
	v_mul_f64 v[160:161], v[58:59], s[28:29]
	v_fmac_f64_e32 v[158:159], s[2:3], v[42:43]
	v_add_f64 v[176:177], v[158:159], v[164:165]
	v_fma_f64 v[158:159], v[156:157], s[2:3], -v[160:161]
	v_add_f64 v[44:45], v[158:159], v[44:45]
	v_mul_f64 v[158:159], v[60:61], s[24:25]
	v_fma_f64 v[166:167], s[2:3], v[156:157], v[160:161]
	v_fma_f64 v[160:161], v[42:43], s[0:1], -v[158:159]
	v_add_f64 v[46:47], v[160:161], v[46:47]
	v_mul_f64 v[160:161], v[58:59], s[24:25]
	v_fmac_f64_e32 v[158:159], s[0:1], v[42:43]
	v_add_f64 v[50:51], v[158:159], v[50:51]
	v_fma_f64 v[158:159], v[156:157], s[0:1], -v[160:161]
	v_mul_f64 v[60:61], v[60:61], s[22:23]
	v_add_f64 v[52:53], v[158:159], v[52:53]
	v_fma_f64 v[158:159], v[42:43], s[14:15], -v[60:61]
	v_mul_f64 v[58:59], v[58:59], s[22:23]
	v_fmac_f64_e32 v[60:61], s[14:15], v[42:43]
	v_add_f64 v[54:55], v[158:159], v[54:55]
	v_fma_f64 v[158:159], s[14:15], v[156:157], v[58:59]
	v_add_f64 v[2:3], v[60:61], v[2:3]
	v_fma_f64 v[58:59], v[156:157], s[14:15], -v[58:59]
	v_add_f64 v[60:61], v[86:87], -v[98:99]
	v_add_f64 v[174:175], v[166:167], v[162:163]
	v_fma_f64 v[162:163], s[0:1], v[156:157], v[160:161]
	v_add_f64 v[56:57], v[158:159], v[56:57]
	v_add_f64 v[0:1], v[58:59], v[0:1]
	;; [unrolled: 1-line block ×3, first 2 shown]
	v_add_f64 v[58:59], v[84:85], -v[96:97]
	v_mul_f64 v[158:159], v[60:61], s[22:23]
	v_add_f64 v[48:49], v[162:163], v[48:49]
	v_add_f64 v[166:167], v[86:87], v[98:99]
	v_mul_f64 v[160:161], v[58:59], s[22:23]
	v_fma_f64 v[162:163], s[14:15], v[164:165], v[158:159]
	v_add_f64 v[62:63], v[162:163], v[62:63]
	v_fma_f64 v[162:163], v[166:167], s[14:15], -v[160:161]
	v_add_f64 v[112:113], v[162:163], v[112:113]
	v_mul_f64 v[162:163], v[60:61], s[34:35]
	v_mul_f64 v[168:169], v[58:59], s[34:35]
	v_fma_f64 v[178:179], s[12:13], v[164:165], v[162:163]
	v_add_f64 v[114:115], v[178:179], v[114:115]
	v_fma_f64 v[178:179], v[166:167], s[12:13], -v[168:169]
	v_add_f64 v[178:179], v[178:179], v[170:171]
	v_mul_f64 v[170:171], v[60:61], s[24:25]
	v_fma_f64 v[180:181], v[164:165], s[0:1], -v[170:171]
	v_add_f64 v[172:173], v[180:181], v[172:173]
	v_mul_f64 v[180:181], v[58:59], s[24:25]
	v_fmac_f64_e32 v[170:171], s[0:1], v[164:165]
	v_add_f64 v[176:177], v[170:171], v[176:177]
	v_fma_f64 v[170:171], v[166:167], s[0:1], -v[180:181]
	v_add_f64 v[44:45], v[170:171], v[44:45]
	v_mul_f64 v[170:171], v[60:61], s[26:27]
	v_fma_f64 v[182:183], s[0:1], v[166:167], v[180:181]
	v_fma_f64 v[180:181], v[164:165], s[18:19], -v[170:171]
	v_add_f64 v[46:47], v[180:181], v[46:47]
	v_mul_f64 v[180:181], v[58:59], s[26:27]
	v_add_f64 v[174:175], v[182:183], v[174:175]
	v_fma_f64 v[182:183], s[18:19], v[166:167], v[180:181]
	v_add_f64 v[182:183], v[182:183], v[48:49]
	v_fma_f64 v[48:49], v[166:167], s[18:19], -v[180:181]
	v_fmac_f64_e32 v[170:171], s[18:19], v[164:165]
	v_add_f64 v[180:181], v[48:49], v[52:53]
	v_mul_f64 v[48:49], v[60:61], s[28:29]
	v_add_f64 v[184:185], v[170:171], v[50:51]
	v_fma_f64 v[50:51], v[164:165], s[2:3], -v[48:49]
	v_add_f64 v[60:61], v[50:51], v[54:55]
	v_mul_f64 v[50:51], v[58:59], s[28:29]
	v_fmac_f64_e32 v[48:49], s[2:3], v[164:165]
	v_add_f64 v[192:193], v[90:91], -v[94:95]
	v_fma_f64 v[52:53], s[2:3], v[166:167], v[50:51]
	v_add_f64 v[186:187], v[48:49], v[2:3]
	v_fma_f64 v[2:3], v[166:167], s[2:3], -v[50:51]
	v_add_f64 v[50:51], v[88:89], v[92:93]
	v_add_f64 v[190:191], v[88:89], -v[92:93]
	v_mul_f64 v[170:171], v[192:193], s[26:27]
	v_add_f64 v[58:59], v[52:53], v[56:57]
	v_add_f64 v[188:189], v[2:3], v[0:1]
	v_add_f64 v[52:53], v[90:91], v[94:95]
	v_mul_f64 v[48:49], v[190:191], s[26:27]
	v_fma_f64 v[0:1], s[18:19], v[50:51], v[170:171]
	v_add_f64 v[196:197], v[0:1], v[62:63]
	v_fma_f64 v[0:1], v[52:53], s[18:19], -v[48:49]
	v_mul_f64 v[54:55], v[192:193], s[30:31]
	v_add_f64 v[198:199], v[0:1], v[112:113]
	v_mul_f64 v[56:57], v[190:191], s[30:31]
	v_fma_f64 v[0:1], s[0:1], v[50:51], v[54:55]
	v_add_f64 v[200:201], v[0:1], v[114:115]
	v_fma_f64 v[0:1], v[52:53], s[0:1], -v[56:57]
	v_add_f64 v[202:203], v[0:1], v[178:179]
	v_mul_f64 v[0:1], v[192:193], s[22:23]
	v_fma_f64 v[2:3], v[50:51], s[14:15], -v[0:1]
	v_add_f64 v[112:113], v[2:3], v[172:173]
	v_mul_f64 v[2:3], v[190:191], s[22:23]
	v_fmac_f64_e32 v[0:1], s[14:15], v[50:51]
	v_fma_f64 v[62:63], s[14:15], v[52:53], v[2:3]
	v_add_f64 v[172:173], v[0:1], v[176:177]
	v_fma_f64 v[0:1], v[52:53], s[14:15], -v[2:3]
	v_add_f64 v[114:115], v[62:63], v[174:175]
	v_add_f64 v[174:175], v[0:1], v[44:45]
	v_mul_f64 v[44:45], v[192:193], s[28:29]
	v_fma_f64 v[0:1], v[50:51], s[2:3], -v[44:45]
	v_add_f64 v[0:1], v[0:1], v[46:47]
	v_mul_f64 v[46:47], v[190:191], s[28:29]
	v_fmac_f64_e32 v[44:45], s[2:3], v[50:51]
	v_add_f64 v[176:177], v[44:45], v[184:185]
	v_fma_f64 v[44:45], v[52:53], s[2:3], -v[46:47]
	v_add_f64 v[178:179], v[44:45], v[180:181]
	v_mul_f64 v[44:45], v[192:193], s[20:21]
	v_fma_f64 v[2:3], s[2:3], v[52:53], v[46:47]
	v_fma_f64 v[46:47], v[50:51], s[12:13], -v[44:45]
	v_add_f64 v[180:181], v[46:47], v[60:61]
	v_mul_f64 v[46:47], v[190:191], s[20:21]
	v_fma_f64 v[60:61], s[12:13], v[52:53], v[46:47]
	v_fmac_f64_e32 v[44:45], s[12:13], v[50:51]
	v_mul_lo_u16_e32 v41, 11, v194
	v_add_f64 v[2:3], v[2:3], v[182:183]
	v_add_f64 v[182:183], v[60:61], v[58:59]
	;; [unrolled: 1-line block ×3, first 2 shown]
	v_fma_f64 v[44:45], v[52:53], s[12:13], -v[46:47]
	v_lshlrev_b32_e32 v65, 4, v41
	v_add_f64 v[60:61], v[44:45], v[188:189]
	s_barrier
	ds_write_b128 v65, v[116:119]
	ds_write_b128 v65, v[124:127] offset:16
	ds_write_b128 v65, v[132:135] offset:32
	;; [unrolled: 1-line block ×5, first 2 shown]
	v_mov_b64_e32 v[146:147], v[172:173]
	ds_write_b128 v65, v[152:155] offset:96
	v_mov_b64_e32 v[150:151], v[176:177]
	v_mov_b64_e32 v[148:149], v[174:175]
	;; [unrolled: 1-line block ×5, first 2 shown]
	ds_write_b128 v65, v[140:143] offset:112
	v_mov_b64_e32 v[142:143], v[200:201]
	v_mov_b64_e32 v[138:139], v[196:197]
	;; [unrolled: 1-line block ×6, first 2 shown]
	v_mul_u32_u24_e32 v187, 11, v40
	ds_write_b128 v65, v[128:131] offset:128
	ds_write_b128 v65, v[120:123] offset:144
	;; [unrolled: 1-line block ×3, first 2 shown]
	s_and_saveexec_b64 s[20:21], vcc
	s_cbranch_execz .LBB0_7
; %bb.6:
	v_mul_f64 v[4:5], v[16:17], s[2:3]
	v_mul_f64 v[44:45], v[16:17], s[0:1]
	;; [unrolled: 1-line block ×5, first 2 shown]
	v_add_f64 v[4:5], v[4:5], -v[12:13]
	v_mul_f64 v[46:47], v[18:19], s[0:1]
	v_mul_f64 v[18:19], v[30:31], s[2:3]
	;; [unrolled: 1-line block ×5, first 2 shown]
	v_add_f64 v[6:7], v[14:15], v[6:7]
	v_add_f64 v[24:25], v[28:29], -v[24:25]
	v_add_f64 v[4:5], v[68:69], v[4:5]
	v_mul_f64 v[120:121], v[164:165], s[12:13]
	v_add_f64 v[26:27], v[26:27], v[30:31]
	v_add_f64 v[6:7], v[70:71], v[6:7]
	v_add_f64 v[30:31], v[42:43], -v[36:37]
	v_add_f64 v[4:5], v[24:25], v[4:5]
	v_add_f64 v[10:11], v[10:11], v[46:47]
	v_mul_f64 v[60:61], v[156:157], s[12:13]
	v_mul_f64 v[124:125], v[50:51], s[18:19]
	;; [unrolled: 1-line block ×3, first 2 shown]
	v_add_f64 v[6:7], v[26:27], v[6:7]
	v_add_f64 v[26:27], v[120:121], -v[162:163]
	v_add_f64 v[4:5], v[30:31], v[4:5]
	v_add_f64 v[18:19], v[22:23], v[18:19]
	;; [unrolled: 1-line block ×3, first 2 shown]
	v_add_f64 v[8:9], v[44:45], -v[8:9]
	v_mul_f64 v[118:119], v[166:167], s[14:15]
	v_add_f64 v[14:15], v[50:51], -v[54:55]
	v_add_f64 v[4:5], v[26:27], v[4:5]
	v_add_f64 v[24:25], v[34:35], v[60:61]
	;; [unrolled: 1-line block ×3, first 2 shown]
	v_add_f64 v[16:17], v[16:17], -v[20:21]
	v_add_f64 v[8:9], v[68:69], v[8:9]
	v_mul_f64 v[116:117], v[164:165], s[14:15]
	v_mul_f64 v[126:127], v[52:53], s[18:19]
	v_add_f64 v[4:5], v[14:15], v[4:5]
	v_add_f64 v[14:15], v[160:161], v[118:119]
	;; [unrolled: 1-line block ×3, first 2 shown]
	v_add_f64 v[18:19], v[58:59], -v[32:33]
	v_add_f64 v[8:9], v[16:17], v[8:9]
	v_add_f64 v[12:13], v[48:49], v[126:127]
	;; [unrolled: 1-line block ×3, first 2 shown]
	v_add_f64 v[14:15], v[116:117], -v[158:159]
	v_add_f64 v[8:9], v[18:19], v[8:9]
	v_add_f64 v[10:11], v[12:13], v[10:11]
	v_add_f64 v[12:13], v[124:125], -v[170:171]
	v_add_f64 v[8:9], v[14:15], v[8:9]
	v_add_f64 v[8:9], v[12:13], v[8:9]
	;; [unrolled: 1-line block ×18, first 2 shown]
	v_mul_f64 v[62:63], v[156:157], s[18:19]
	v_add_f64 v[12:13], v[12:13], v[96:97]
	v_mul_f64 v[122:123], v[166:167], s[12:13]
	v_mul_f64 v[52:53], v[52:53], s[0:1]
	v_add_f64 v[38:39], v[38:39], v[62:63]
	v_add_f64 v[12:13], v[12:13], v[100:101]
	;; [unrolled: 1-line block ×8, first 2 shown]
	v_lshlrev_b32_e32 v16, 4, v187
	v_add_f64 v[6:7], v[52:53], v[6:7]
	ds_write_b128 v16, v[12:15]
	ds_write_b128 v16, v[8:11] offset:16
	ds_write_b128 v16, v[4:7] offset:32
	;; [unrolled: 1-line block ×10, first 2 shown]
.LBB0_7:
	s_or_b64 exec, exec, s[20:21]
	s_waitcnt lgkmcnt(0)
	s_barrier
	ds_read_b128 v[28:31], v64
	ds_read_b128 v[24:27], v64 offset:1760
	ds_read_b128 v[32:35], v64 offset:14960
	;; [unrolled: 1-line block ×13, first 2 shown]
	v_cmp_gt_u16_e64 s[0:1], 55, v194
	s_and_saveexec_b64 s[2:3], s[0:1]
	s_cbranch_execz .LBB0_9
; %bb.8:
	ds_read_b128 v[112:115], v64 offset:12320
	ds_read_b128 v[0:3], v64 offset:25520
.LBB0_9:
	s_or_b64 exec, exec, s[2:3]
	s_mov_b64 s[2:3], 0xdc
	v_lshl_add_u64 v[42:43], v[194:195], 0, s[2:3]
	s_mov_b64 s[2:3], 0x14a
	v_lshl_add_u64 v[70:71], v[194:195], 0, s[2:3]
	;; [unrolled: 2-line block ×5, first 2 shown]
	s_movk_i32 s2, 0x75
	v_mul_lo_u16_sdwa v41, v194, s2 dst_sel:DWORD dst_unused:UNUSED_PAD src0_sel:BYTE_0 src1_sel:DWORD
	v_sub_u16_sdwa v44, v194, v41 dst_sel:DWORD dst_unused:UNUSED_PAD src0_sel:DWORD src1_sel:BYTE_1
	v_lshrrev_b16_e32 v44, 1, v44
	v_and_b32_e32 v44, 0x7f, v44
	v_add_u16_sdwa v41, v44, v41 dst_sel:DWORD dst_unused:UNUSED_PAD src0_sel:DWORD src1_sel:BYTE_1
	v_lshrrev_b16_e32 v66, 3, v41
	v_mul_lo_u16_e32 v41, 11, v66
	v_sub_u16_e32 v41, v194, v41
	v_and_b32_e32 v67, 0xff, v41
	v_mul_lo_u16_sdwa v41, v40, s2 dst_sel:DWORD dst_unused:UNUSED_PAD src0_sel:BYTE_0 src1_sel:DWORD
	v_sub_u16_sdwa v44, v40, v41 dst_sel:DWORD dst_unused:UNUSED_PAD src0_sel:DWORD src1_sel:BYTE_1
	v_lshrrev_b16_e32 v44, 1, v44
	s_mov_b32 s2, 0xba2f
	v_and_b32_e32 v44, 0x7f, v44
	v_mul_u32_u24_sdwa v45, v42, s2 dst_sel:DWORD dst_unused:UNUSED_PAD src0_sel:WORD_0 src1_sel:DWORD
	v_add_u16_sdwa v41, v44, v41 dst_sel:DWORD dst_unused:UNUSED_PAD src0_sel:DWORD src1_sel:BYTE_1
	v_lshrrev_b32_e32 v71, 19, v45
	v_mul_u32_u24_sdwa v44, v70, s2 dst_sel:DWORD dst_unused:UNUSED_PAD src0_sel:WORD_0 src1_sel:DWORD
	v_lshrrev_b16_e32 v69, 3, v41
	v_mul_lo_u16_e32 v41, 11, v71
	v_lshrrev_b32_e32 v85, 19, v44
	v_sub_u16_e32 v84, v42, v41
	v_mul_lo_u16_e32 v50, 11, v85
	v_lshlrev_b32_e32 v41, 4, v84
	v_sub_u16_e32 v86, v70, v50
	v_lshlrev_b32_e32 v50, 4, v86
	global_load_dwordx4 v[164:167], v41, s[8:9]
	global_load_dwordx4 v[160:163], v50, s[8:9]
	v_mul_u32_u24_sdwa v41, v68, s2 dst_sel:DWORD dst_unused:UNUSED_PAD src0_sel:WORD_0 src1_sel:DWORD
	v_lshrrev_b32_e32 v87, 19, v41
	v_mul_lo_u16_e32 v49, 11, v69
	v_mul_lo_u16_e32 v50, 11, v87
	v_sub_u16_e32 v88, v68, v50
	v_sub_u16_e32 v49, v40, v49
	v_lshlrev_b32_e32 v47, 4, v67
	v_lshlrev_b32_e32 v50, 4, v88
	v_and_b32_e32 v89, 0xff, v49
	global_load_dwordx4 v[168:171], v50, s[8:9]
	v_lshlrev_b32_e32 v49, 4, v89
	global_load_dwordx4 v[76:79], v47, s[8:9]
	global_load_dwordx4 v[72:75], v49, s[8:9]
	v_mul_u32_u24_sdwa v47, v46, s2 dst_sel:DWORD dst_unused:UNUSED_PAD src0_sel:WORD_0 src1_sel:DWORD
	v_lshrrev_b32_e32 v90, 19, v47
	v_mul_lo_u16_e32 v47, 11, v90
	v_sub_u16_e32 v91, v46, v47
	v_lshlrev_b32_e32 v46, 4, v91
	global_load_dwordx4 v[180:183], v46, s[8:9]
	v_mul_u32_u24_sdwa v46, v48, s2 dst_sel:DWORD dst_unused:UNUSED_PAD src0_sel:WORD_0 src1_sel:DWORD
	v_lshrrev_b32_e32 v92, 19, v46
	v_mul_lo_u16_e32 v46, 11, v92
	v_add_u16_e32 v47, 0x302, v194
	v_sub_u16_e32 v93, v48, v46
	v_mul_u32_u24_e32 v48, 0xba2f, v47
	v_lshlrev_b32_e32 v46, 4, v93
	v_lshrrev_b32_e32 v154, 19, v48
	global_load_dwordx4 v[80:83], v46, s[8:9]
	v_mul_lo_u16_e32 v46, 11, v154
	v_sub_u16_e32 v155, v47, v46
	v_lshlrev_b32_e32 v46, 4, v155
	global_load_dwordx4 v[156:159], v46, s[8:9]
	s_waitcnt lgkmcnt(0)
	s_barrier
	s_waitcnt vmcnt(7)
	v_mul_f64 v[46:47], v[118:119], v[166:167]
	v_mul_f64 v[48:49], v[116:117], v[166:167]
	v_fma_f64 v[46:47], v[116:117], v[164:165], -v[46:47]
	v_fmac_f64_e32 v[48:49], v[118:119], v[164:165]
	s_waitcnt vmcnt(6)
	v_mul_f64 v[50:51], v[122:123], v[162:163]
	v_mul_f64 v[52:53], v[120:121], v[162:163]
	v_fma_f64 v[50:51], v[120:121], v[160:161], -v[50:51]
	v_fmac_f64_e32 v[52:53], v[122:123], v[160:161]
	s_waitcnt vmcnt(5)
	v_mul_f64 v[54:55], v[102:103], v[170:171]
	s_waitcnt vmcnt(4)
	v_mul_f64 v[56:57], v[110:111], v[78:79]
	;; [unrolled: 2-line block ×3, first 2 shown]
	v_mul_f64 v[60:61], v[34:35], v[74:75]
	v_accvgpr_write_b32 a68, v72
	v_fmac_f64_e32 v[62:63], v[34:35], v[72:73]
	v_mul_f64 v[58:59], v[108:109], v[78:79]
	v_accvgpr_write_b32 a72, v76
	s_waitcnt vmcnt(2)
	v_mul_f64 v[34:35], v[106:107], v[182:183]
	v_fma_f64 v[32:33], v[32:33], v[72:73], -v[60:61]
	v_accvgpr_write_b32 a69, v73
	v_accvgpr_write_b32 a70, v74
	;; [unrolled: 1-line block ×3, first 2 shown]
	v_fma_f64 v[72:73], v[104:105], v[180:181], -v[34:35]
	v_fma_f64 v[56:57], v[108:109], v[76:77], -v[56:57]
	v_accvgpr_write_b32 a73, v77
	v_accvgpr_write_b32 a74, v78
	s_waitcnt vmcnt(1)
	v_mul_f64 v[34:35], v[38:39], v[82:83]
	v_accvgpr_write_b32 a76, v80
	v_accvgpr_write_b32 a75, v79
	v_fmac_f64_e32 v[58:59], v[110:111], v[76:77]
	v_fma_f64 v[76:77], v[36:37], v[80:81], -v[34:35]
	v_mul_f64 v[78:79], v[36:37], v[82:83]
	v_accvgpr_write_b32 a77, v81
	v_accvgpr_write_b32 a78, v82
	;; [unrolled: 1-line block ×3, first 2 shown]
	s_waitcnt vmcnt(0)
	v_mul_f64 v[34:35], v[2:3], v[158:159]
	v_mul_f64 v[82:83], v[0:1], v[158:159]
	v_fmac_f64_e32 v[78:79], v[38:39], v[80:81]
	v_fma_f64 v[80:81], v[0:1], v[156:157], -v[34:35]
	v_fmac_f64_e32 v[82:83], v[2:3], v[156:157]
	v_add_f64 v[0:1], v[28:29], -v[56:57]
	v_add_f64 v[2:3], v[30:31], -v[58:59]
	;; [unrolled: 1-line block ×3, first 2 shown]
	v_mul_u32_u24_e32 v62, 22, v66
	v_fma_f64 v[28:29], v[28:29], 2.0, -v[0:1]
	v_fma_f64 v[30:31], v[30:31], 2.0, -v[2:3]
	v_add_lshl_u32 v184, v62, v67, 4
	ds_write_b128 v184, v[28:31]
	ds_write_b128 v184, v[0:3] offset:176
	v_mul_u32_u24_e32 v0, 22, v69
	v_add_f64 v[32:33], v[24:25], -v[32:33]
	v_add_f64 v[36:37], v[20:21], -v[46:47]
	;; [unrolled: 1-line block ×3, first 2 shown]
	v_add_lshl_u32 v185, v0, v89, 4
	v_mad_legacy_u16 v0, v71, 22, v84
	v_fma_f64 v[24:25], v[24:25], 2.0, -v[32:33]
	v_fma_f64 v[26:27], v[26:27], 2.0, -v[34:35]
	;; [unrolled: 1-line block ×4, first 2 shown]
	v_lshlrev_b32_e32 v0, 4, v0
	v_mul_f64 v[60:61], v[100:101], v[170:171]
	v_add_f64 v[46:47], v[16:17], -v[50:51]
	v_add_f64 v[48:49], v[18:19], -v[52:53]
	ds_write_b128 v185, v[24:27]
	ds_write_b128 v185, v[32:35] offset:176
	ds_write_b128 v0, v[20:23]
	v_accvgpr_write_b32 a82, v0
	ds_write_b128 v0, v[36:39] offset:176
	v_mad_legacy_u16 v0, v85, 22, v86
	v_fma_f64 v[54:55], v[100:101], v[168:169], -v[54:55]
	v_fmac_f64_e32 v[60:61], v[102:103], v[168:169]
	v_fma_f64 v[16:17], v[16:17], 2.0, -v[46:47]
	v_fma_f64 v[18:19], v[18:19], 2.0, -v[48:49]
	v_lshlrev_b32_e32 v0, 4, v0
	v_mul_f64 v[74:75], v[104:105], v[182:183]
	v_add_f64 v[50:51], v[12:13], -v[54:55]
	v_add_f64 v[52:53], v[14:15], -v[60:61]
	ds_write_b128 v0, v[16:19]
	v_accvgpr_write_b32 a83, v0
	ds_write_b128 v0, v[46:49] offset:176
	v_mad_legacy_u16 v0, v87, 22, v88
	v_fmac_f64_e32 v[74:75], v[106:107], v[180:181]
	v_fma_f64 v[12:13], v[12:13], 2.0, -v[50:51]
	v_fma_f64 v[14:15], v[14:15], 2.0, -v[52:53]
	v_lshlrev_b32_e32 v0, 4, v0
	v_add_f64 v[54:55], v[8:9], -v[72:73]
	v_add_f64 v[56:57], v[10:11], -v[74:75]
	ds_write_b128 v0, v[12:15]
	v_accvgpr_write_b32 a84, v0
	ds_write_b128 v0, v[50:53] offset:176
	v_mad_legacy_u16 v0, v90, 22, v91
	v_fma_f64 v[8:9], v[8:9], 2.0, -v[54:55]
	v_fma_f64 v[10:11], v[10:11], 2.0, -v[56:57]
	v_lshlrev_b32_e32 v0, 4, v0
	ds_write_b128 v0, v[8:11]
	v_accvgpr_write_b32 a85, v0
	ds_write_b128 v0, v[54:57] offset:176
	v_mad_legacy_u16 v0, v92, 22, v93
	v_add_f64 v[58:59], v[4:5], -v[76:77]
	v_add_f64 v[60:61], v[6:7], -v[78:79]
	v_lshlrev_b32_e32 v0, 4, v0
	v_fma_f64 v[4:5], v[4:5], 2.0, -v[58:59]
	v_fma_f64 v[6:7], v[6:7], 2.0, -v[60:61]
	v_add_f64 v[204:205], v[112:113], -v[80:81]
	v_add_f64 v[206:207], v[114:115], -v[82:83]
	v_accvgpr_write_b32 a86, v0
	ds_write_b128 v0, v[4:7]
	ds_write_b128 v0, v[58:61] offset:176
	s_and_saveexec_b64 s[2:3], s[0:1]
	s_cbranch_execz .LBB0_11
; %bb.10:
	v_mad_legacy_u16 v4, v154, 22, v155
	v_fma_f64 v[2:3], v[114:115], 2.0, -v[206:207]
	v_fma_f64 v[0:1], v[112:113], 2.0, -v[204:205]
	v_lshlrev_b32_e32 v4, 4, v4
	ds_write_b128 v4, v[0:3]
	ds_write_b128 v4, v[204:207] offset:176
.LBB0_11:
	s_or_b64 exec, exec, s[2:3]
	v_lshrrev_b16_e32 v0, 1, v194
	v_and_b32_e32 v0, 0x7f, v0
	v_mul_lo_u16_e32 v0, 0xbb, v0
	v_lshrrev_b16_e32 v66, 11, v0
	v_mul_lo_u16_e32 v0, 22, v66
	v_sub_u16_e32 v0, v194, v0
	v_lshrrev_b32_e32 v98, 20, v45
	v_and_b32_e32 v67, 0xff, v0
	v_mul_lo_u16_e32 v0, 22, v98
	v_lshlrev_b32_e32 v30, 4, v194
	v_mov_b32_e32 v31, 0
	v_sub_u16_e32 v99, v42, v0
	v_lshl_add_u64 v[28:29], s[16:17], 0, v[30:31]
	v_lshlrev_b16_e32 v30, 5, v99
	v_lshlrev_b32_e32 v2, 5, v67
	v_lshl_add_u64 v[0:1], s[8:9], 0, v[30:31]
	s_waitcnt lgkmcnt(0)
	s_barrier
	global_load_dwordx4 v[80:83], v[0:1], off offset:192
	global_load_dwordx4 v[84:87], v[0:1], off offset:176
	global_load_dwordx4 v[88:91], v2, s[8:9] offset:192
	global_load_dwordx4 v[92:95], v2, s[8:9] offset:176
	v_mov_b32_e32 v2, 1
	v_lshrrev_b16_sdwa v2, v2, v40 dst_sel:DWORD dst_unused:UNUSED_PAD src0_sel:DWORD src1_sel:BYTE_0
	v_mul_lo_u16_e32 v2, 0xbb, v2
	v_lshrrev_b32_e32 v100, 20, v44
	v_lshrrev_b16_e32 v102, 11, v2
	v_mul_lo_u16_e32 v0, 22, v100
	v_mul_lo_u16_e32 v2, 22, v102
	v_sub_u16_e32 v101, v70, v0
	v_sub_u16_e32 v2, v40, v2
	v_lshlrev_b16_e32 v30, 5, v101
	v_and_b32_e32 v103, 0xff, v2
	v_lshl_add_u64 v[0:1], s[8:9], 0, v[30:31]
	v_lshlrev_b32_e32 v2, 5, v103
	v_lshrrev_b32_e32 v41, 20, v41
	global_load_dwordx4 v[106:109], v[0:1], off offset:176
	global_load_dwordx4 v[118:121], v2, s[8:9] offset:176
	global_load_dwordx4 v[114:117], v2, s[8:9] offset:192
	global_load_dwordx4 v[110:113], v[0:1], off offset:192
	v_mul_lo_u16_e32 v0, 22, v41
	v_sub_u16_e32 v104, v68, v0
	v_lshlrev_b16_e32 v30, 5, v104
	v_lshl_add_u64 v[0:1], s[8:9], 0, v[30:31]
	global_load_dwordx4 v[126:129], v[0:1], off offset:176
	global_load_dwordx4 v[122:125], v[0:1], off offset:192
	ds_read_b128 v[16:19], v64
	ds_read_b128 v[12:15], v64 offset:1760
	ds_read_b128 v[20:23], v64 offset:17600
	;; [unrolled: 1-line block ×14, first 2 shown]
	s_mov_b32 s2, 0xe8584caa
	s_mov_b32 s3, 0x3febb67a
	;; [unrolled: 1-line block ×4, first 2 shown]
	v_mul_u32_u24_e32 v30, 0x42, v66
	v_add_lshl_u32 v30, v30, v67, 4
	s_waitcnt lgkmcnt(0)
	s_barrier
	v_accvgpr_write_b32 a87, v30
	s_mov_b32 s14, 0x134454ff
	s_mov_b32 s15, 0x3fee6f0e
	;; [unrolled: 1-line block ×7, first 2 shown]
	s_movk_i32 s22, 0x14a
	s_movk_i32 s24, 0x1000
	v_mov_b32_e32 v186, v194
	s_waitcnt vmcnt(9)
	v_mul_f64 v[76:77], v[46:47], v[82:83]
	s_waitcnt vmcnt(8)
	v_mul_f64 v[72:73], v[38:39], v[86:87]
	v_mul_f64 v[74:75], v[36:37], v[86:87]
	;; [unrolled: 1-line block ×3, first 2 shown]
	v_fma_f64 v[72:73], v[36:37], v[84:85], -v[72:73]
	v_accvgpr_write_b32 a95, v87
	v_fma_f64 v[76:77], v[44:45], v[80:81], -v[76:77]
	v_accvgpr_write_b32 a91, v83
	s_waitcnt vmcnt(7)
	v_mul_f64 v[44:45], v[22:23], v[90:91]
	v_accvgpr_write_b32 a94, v86
	v_accvgpr_write_b32 a93, v85
	;; [unrolled: 1-line block ×3, first 2 shown]
	v_fmac_f64_e32 v[74:75], v[38:39], v[84:85]
	v_accvgpr_write_b32 a90, v82
	v_accvgpr_write_b32 a89, v81
	;; [unrolled: 1-line block ×3, first 2 shown]
	v_fmac_f64_e32 v[78:79], v[46:47], v[80:81]
	s_waitcnt vmcnt(6)
	v_mul_f64 v[38:39], v[52:53], v[94:95]
	s_waitcnt vmcnt(5)
	v_mul_f64 v[36:37], v[58:59], v[108:109]
	v_fma_f64 v[82:83], v[56:57], v[106:107], -v[36:37]
	v_mul_f64 v[36:37], v[54:55], v[94:95]
	v_mul_f64 v[46:47], v[20:21], v[90:91]
	s_waitcnt vmcnt(3)
	v_mul_f64 v[84:85], v[26:27], v[116:117]
	v_fma_f64 v[44:45], v[20:21], v[88:89], -v[44:45]
	s_waitcnt vmcnt(2)
	v_mul_f64 v[20:21], v[50:51], v[112:113]
	v_fma_f64 v[36:37], v[52:53], v[92:93], -v[36:37]
	v_fmac_f64_e32 v[38:39], v[54:55], v[92:93]
	v_accvgpr_write_b32 a99, v91
	v_fma_f64 v[54:55], v[24:25], v[114:115], -v[84:85]
	v_fma_f64 v[84:85], v[48:49], v[110:111], -v[20:21]
	s_waitcnt vmcnt(1)
	v_mul_f64 v[20:21], v[62:63], v[128:129]
	v_mul_f64 v[80:81], v[56:57], v[108:109]
	;; [unrolled: 1-line block ×4, first 2 shown]
	v_accvgpr_write_b32 a103, v95
	v_accvgpr_write_b32 a98, v90
	;; [unrolled: 1-line block ×4, first 2 shown]
	v_fmac_f64_e32 v[46:47], v[22:23], v[88:89]
	v_fma_f64 v[90:91], v[60:61], v[126:127], -v[20:21]
	s_waitcnt vmcnt(0)
	v_mul_f64 v[20:21], v[70:71], v[124:125]
	v_add_f64 v[22:23], v[36:37], v[44:45]
	v_fmac_f64_e32 v[80:81], v[58:59], v[106:107]
	v_mul_f64 v[58:59], v[32:33], v[120:121]
	v_accvgpr_write_b32 a102, v94
	v_accvgpr_write_b32 a101, v93
	;; [unrolled: 1-line block ×3, first 2 shown]
	v_fma_f64 v[52:53], v[32:33], v[118:119], -v[56:57]
	v_fmac_f64_e32 v[86:87], v[26:27], v[114:115]
	v_fma_f64 v[94:95], v[68:69], v[122:123], -v[20:21]
	v_add_f64 v[20:21], v[16:17], v[36:37]
	v_fmac_f64_e32 v[16:17], -0.5, v[22:23]
	v_add_f64 v[22:23], v[38:39], -v[46:47]
	v_add_f64 v[26:27], v[38:39], v[46:47]
	v_fmac_f64_e32 v[58:59], v[34:35], v[118:119]
	v_fma_f64 v[24:25], s[2:3], v[22:23], v[16:17]
	v_fmac_f64_e32 v[16:17], s[12:13], v[22:23]
	v_add_f64 v[22:23], v[18:19], v[38:39]
	v_fmac_f64_e32 v[18:19], -0.5, v[26:27]
	v_add_f64 v[32:33], v[36:37], -v[44:45]
	v_add_f64 v[34:35], v[52:53], v[54:55]
	v_fma_f64 v[26:27], s[12:13], v[32:33], v[18:19]
	v_fmac_f64_e32 v[18:19], s[2:3], v[32:33]
	v_add_f64 v[32:33], v[12:13], v[52:53]
	v_fmac_f64_e32 v[12:13], -0.5, v[34:35]
	v_add_f64 v[34:35], v[58:59], -v[86:87]
	v_add_f64 v[38:39], v[58:59], v[86:87]
	v_mul_f64 v[88:89], v[48:49], v[112:113]
	v_add_f64 v[20:21], v[20:21], v[44:45]
	v_add_f64 v[22:23], v[22:23], v[46:47]
	v_fma_f64 v[36:37], s[2:3], v[34:35], v[12:13]
	v_fmac_f64_e32 v[12:13], s[12:13], v[34:35]
	v_add_f64 v[34:35], v[14:15], v[58:59]
	v_fmac_f64_e32 v[14:15], -0.5, v[38:39]
	v_add_f64 v[44:45], v[52:53], -v[54:55]
	v_add_f64 v[46:47], v[72:73], v[76:77]
	v_fmac_f64_e32 v[88:89], v[50:51], v[110:111]
	v_fma_f64 v[38:39], s[12:13], v[44:45], v[14:15]
	v_fmac_f64_e32 v[14:15], s[2:3], v[44:45]
	v_add_f64 v[44:45], v[8:9], v[72:73]
	v_fmac_f64_e32 v[8:9], -0.5, v[46:47]
	v_add_f64 v[46:47], v[74:75], -v[78:79]
	v_add_f64 v[50:51], v[74:75], v[78:79]
	v_add_f64 v[32:33], v[32:33], v[54:55]
	v_fma_f64 v[48:49], s[2:3], v[46:47], v[8:9]
	v_fmac_f64_e32 v[8:9], s[12:13], v[46:47]
	v_add_f64 v[46:47], v[10:11], v[74:75]
	v_fmac_f64_e32 v[10:11], -0.5, v[50:51]
	v_add_f64 v[52:53], v[72:73], -v[76:77]
	v_add_f64 v[54:55], v[82:83], v[84:85]
	v_mul_f64 v[92:93], v[60:61], v[128:129]
	v_mul_f64 v[96:97], v[68:69], v[124:125]
	v_fma_f64 v[50:51], s[12:13], v[52:53], v[10:11]
	v_fmac_f64_e32 v[10:11], s[2:3], v[52:53]
	v_add_f64 v[52:53], v[4:5], v[82:83]
	v_fmac_f64_e32 v[4:5], -0.5, v[54:55]
	v_add_f64 v[54:55], v[80:81], -v[88:89]
	v_add_f64 v[58:59], v[80:81], v[88:89]
	v_fmac_f64_e32 v[92:93], v[62:63], v[126:127]
	v_fmac_f64_e32 v[96:97], v[70:71], v[122:123]
	v_fma_f64 v[56:57], s[2:3], v[54:55], v[4:5]
	v_fmac_f64_e32 v[4:5], s[12:13], v[54:55]
	v_add_f64 v[54:55], v[6:7], v[80:81]
	v_fmac_f64_e32 v[6:7], -0.5, v[58:59]
	v_add_f64 v[60:61], v[82:83], -v[84:85]
	v_add_f64 v[62:63], v[90:91], v[94:95]
	v_fma_f64 v[58:59], s[12:13], v[60:61], v[6:7]
	v_fmac_f64_e32 v[6:7], s[2:3], v[60:61]
	v_add_f64 v[60:61], v[0:1], v[90:91]
	v_fmac_f64_e32 v[0:1], -0.5, v[62:63]
	v_add_f64 v[62:63], v[92:93], -v[96:97]
	v_add_f64 v[70:71], v[92:93], v[96:97]
	v_fma_f64 v[68:69], s[2:3], v[62:63], v[0:1]
	v_fmac_f64_e32 v[0:1], s[12:13], v[62:63]
	v_add_f64 v[62:63], v[2:3], v[92:93]
	v_fmac_f64_e32 v[2:3], -0.5, v[70:71]
	v_add_f64 v[72:73], v[90:91], -v[94:95]
	ds_write_b128 v30, v[20:23]
	ds_write_b128 v30, v[24:27] offset:352
	ds_write_b128 v30, v[16:19] offset:704
	v_mul_u32_u24_e32 v16, 0x42, v102
	v_add_f64 v[34:35], v[34:35], v[86:87]
	v_fma_f64 v[70:71], s[12:13], v[72:73], v[2:3]
	v_fmac_f64_e32 v[2:3], s[2:3], v[72:73]
	s_movk_i32 s2, 0x42
	v_add_lshl_u32 v16, v16, v103, 4
	ds_write_b128 v16, v[32:35]
	ds_write_b128 v16, v[36:39] offset:352
	ds_write_b128 v16, v[12:15] offset:704
	v_mad_legacy_u16 v12, v98, s2, v99
	v_add_f64 v[44:45], v[44:45], v[76:77]
	v_add_f64 v[46:47], v[46:47], v[78:79]
	v_lshlrev_b32_e32 v12, 4, v12
	ds_write_b128 v12, v[44:47]
	ds_write_b128 v12, v[48:51] offset:352
	ds_write_b128 v12, v[8:11] offset:704
	v_mad_legacy_u16 v8, v100, s2, v101
	v_add_f64 v[52:53], v[52:53], v[84:85]
	v_add_f64 v[54:55], v[54:55], v[88:89]
	v_lshlrev_b32_e32 v8, 4, v8
	ds_write_b128 v8, v[52:55]
	ds_write_b128 v8, v[56:59] offset:352
	ds_write_b128 v8, v[4:7] offset:704
	v_mad_legacy_u16 v4, v41, s2, v104
	s_movk_i32 s12, 0xffbe
	v_add_f64 v[60:61], v[60:61], v[94:95]
	v_add_f64 v[62:63], v[62:63], v[96:97]
	v_lshlrev_b32_e32 v4, 4, v4
	s_mov_b32 s13, -1
	ds_write_b128 v4, v[60:63]
	ds_write_b128 v4, v[68:71] offset:352
	ds_write_b128 v4, v[0:3] offset:704
	v_lshl_add_u64 v[0:1], v[194:195], 0, s[12:13]
	v_cmp_gt_u16_e64 s[2:3], s2, v194
	s_waitcnt lgkmcnt(0)
	s_barrier
	v_cndmask_b32_e64 v33, v1, 0, s[2:3]
	v_cndmask_b32_e64 v32, v0, v194, s[2:3]
	v_lshlrev_b64 v[0:1], 6, v[32:33]
	v_lshl_add_u64 v[0:1], s[8:9], 0, v[0:1]
	s_movk_i32 s2, 0xf9
	global_load_dwordx4 v[80:83], v[0:1], off offset:880
	global_load_dwordx4 v[84:87], v[0:1], off offset:896
	;; [unrolled: 1-line block ×4, first 2 shown]
	v_mul_lo_u16_sdwa v0, v40, s2 dst_sel:DWORD dst_unused:UNUSED_PAD src0_sel:BYTE_0 src1_sel:DWORD
	v_lshrrev_b16_e32 v33, 14, v0
	v_mul_lo_u16_e32 v0, 0x42, v33
	v_sub_u16_e32 v0, v40, v0
	v_and_b32_e32 v41, 0xff, v0
	v_accvgpr_write_b32 a104, v106
	v_accvgpr_write_b32 a108, v110
	v_lshlrev_b32_e32 v0, 6, v41
	s_mov_b32 s2, 0xf83f
	v_accvgpr_write_b32 a105, v107
	v_accvgpr_write_b32 a106, v108
	;; [unrolled: 1-line block ×6, first 2 shown]
	global_load_dwordx4 v[96:99], v0, s[8:9] offset:880
	global_load_dwordx4 v[100:103], v0, s[8:9] offset:896
	;; [unrolled: 1-line block ×4, first 2 shown]
	v_mul_u32_u24_sdwa v0, v42, s2 dst_sel:DWORD dst_unused:UNUSED_PAD src0_sel:WORD_0 src1_sel:DWORD
	v_lshrrev_b32_e32 v66, 22, v0
	v_mul_lo_u16_e32 v0, 0x42, v66
	v_sub_u16_e32 v67, v42, v0
	v_lshlrev_b16_e32 v30, 6, v67
	v_accvgpr_write_b32 a116, v118
	v_accvgpr_write_b32 a112, v114
	;; [unrolled: 1-line block ×4, first 2 shown]
	v_lshl_add_u64 v[0:1], s[8:9], 0, v[30:31]
	v_accvgpr_write_b32 a117, v119
	v_accvgpr_write_b32 a118, v120
	;; [unrolled: 1-line block ×12, first 2 shown]
	global_load_dwordx4 v[126:129], v[0:1], off offset:880
	global_load_dwordx4 v[122:125], v[0:1], off offset:896
	;; [unrolled: 1-line block ×4, first 2 shown]
	v_accvgpr_write_b32 a128, v16
	v_accvgpr_write_b32 a129, v12
	;; [unrolled: 1-line block ×4, first 2 shown]
	ds_read_b128 v[8:11], v64
	ds_read_b128 v[4:7], v64 offset:1760
	ds_read_b128 v[12:15], v64 offset:10560
	ds_read_b128 v[16:19], v64 offset:12320
	ds_read_b128 v[20:23], v64 offset:21120
	ds_read_b128 v[24:27], v64 offset:22880
	ds_read_b128 v[34:37], v64 offset:5280
	ds_read_b128 v[0:3], v64 offset:3520
	ds_read_b128 v[44:47], v64 offset:7040
	ds_read_b128 v[52:55], v64 offset:8800
	ds_read_b128 v[48:51], v64 offset:15840
	ds_read_b128 v[56:59], v64 offset:14080
	ds_read_b128 v[60:63], v64 offset:17600
	ds_read_b128 v[68:71], v64 offset:19360
	ds_read_b128 v[72:75], v64 offset:24640
	s_mov_b32 s12, 0x4755a5e
	s_mov_b32 s13, 0x3fe2cf23
	s_mov_b32 s20, s12
	s_movk_i32 s2, 0x41
	v_mov_b32_e32 v30, 0x14a
	v_cmp_lt_u16_e64 s[2:3], s2, v194
	s_waitcnt lgkmcnt(0)
	s_barrier
	v_cndmask_b32_e64 v30, 0, v30, s[2:3]
	v_add_lshl_u32 v30, v32, v30, 4
	v_accvgpr_write_b32 a180, v30
	s_waitcnt vmcnt(11)
	v_mul_f64 v[38:39], v[36:37], v[82:83]
	v_fma_f64 v[76:77], v[34:35], v[80:81], -v[38:39]
	v_mul_f64 v[78:79], v[34:35], v[82:83]
	v_accvgpr_write_b32 a147, v83
	s_waitcnt vmcnt(10)
	v_mul_f64 v[34:35], v[14:15], v[86:87]
	v_accvgpr_write_b32 a146, v82
	v_accvgpr_write_b32 a145, v81
	;; [unrolled: 1-line block ×3, first 2 shown]
	v_fmac_f64_e32 v[78:79], v[36:37], v[80:81]
	v_fma_f64 v[80:81], v[12:13], v[84:85], -v[34:35]
	v_mul_f64 v[82:83], v[12:13], v[86:87]
	v_accvgpr_write_b32 a143, v87
	s_waitcnt vmcnt(8)
	v_mul_f64 v[12:13], v[50:51], v[90:91]
	v_accvgpr_write_b32 a142, v86
	v_accvgpr_write_b32 a141, v85
	;; [unrolled: 1-line block ×3, first 2 shown]
	v_fmac_f64_e32 v[82:83], v[14:15], v[84:85]
	v_fma_f64 v[84:85], v[48:49], v[88:89], -v[12:13]
	v_mul_f64 v[86:87], v[48:49], v[90:91]
	v_accvgpr_write_b32 a139, v91
	v_mul_f64 v[12:13], v[22:23], v[94:95]
	v_accvgpr_write_b32 a138, v90
	v_accvgpr_write_b32 a137, v89
	v_accvgpr_write_b32 a136, v88
	v_fmac_f64_e32 v[86:87], v[50:51], v[88:89]
	v_fma_f64 v[88:89], v[20:21], v[92:93], -v[12:13]
	v_mul_f64 v[90:91], v[20:21], v[94:95]
	v_accvgpr_write_b32 a135, v95
	s_waitcnt vmcnt(7)
	v_mul_f64 v[12:13], v[46:47], v[98:99]
	v_accvgpr_write_b32 a134, v94
	v_accvgpr_write_b32 a133, v93
	v_accvgpr_write_b32 a132, v92
	v_fmac_f64_e32 v[90:91], v[22:23], v[92:93]
	v_fma_f64 v[92:93], v[44:45], v[96:97], -v[12:13]
	v_mul_f64 v[94:95], v[44:45], v[98:99]
	v_accvgpr_write_b32 a163, v99
	s_waitcnt vmcnt(6)
	;; [unrolled: 9-line block ×3, first 2 shown]
	v_mul_f64 v[12:13], v[62:63], v[112:113]
	v_accvgpr_write_b32 a158, v102
	v_accvgpr_write_b32 a157, v101
	;; [unrolled: 1-line block ×3, first 2 shown]
	v_fmac_f64_e32 v[98:99], v[18:19], v[100:101]
	v_fma_f64 v[100:101], v[60:61], v[110:111], -v[12:13]
	v_mul_f64 v[102:103], v[60:61], v[112:113]
	v_mul_f64 v[12:13], v[26:27], v[108:109]
	v_fmac_f64_e32 v[102:103], v[62:63], v[110:111]
	v_fma_f64 v[62:63], v[24:25], v[106:107], -v[12:13]
	s_waitcnt vmcnt(3)
	v_mul_f64 v[12:13], v[54:55], v[128:129]
	v_fma_f64 v[50:51], v[52:53], v[126:127], -v[12:13]
	s_waitcnt vmcnt(2)
	v_mul_f64 v[12:13], v[58:59], v[124:125]
	v_mul_f64 v[34:35], v[52:53], v[128:129]
	v_fma_f64 v[52:53], v[56:57], v[122:123], -v[12:13]
	s_waitcnt vmcnt(1)
	v_mul_f64 v[12:13], v[70:71], v[120:121]
	v_fmac_f64_e32 v[34:35], v[54:55], v[126:127]
	v_fma_f64 v[54:55], v[68:69], v[118:119], -v[12:13]
	s_waitcnt vmcnt(0)
	v_mul_f64 v[12:13], v[74:75], v[116:117]
	v_mul_f64 v[36:37], v[56:57], v[124:125]
	v_fma_f64 v[56:57], v[72:73], v[114:115], -v[12:13]
	v_add_f64 v[12:13], v[8:9], v[76:77]
	v_add_f64 v[12:13], v[12:13], v[80:81]
	;; [unrolled: 1-line block ×5, first 2 shown]
	v_fma_f64 v[12:13], -0.5, v[12:13], v[8:9]
	v_add_f64 v[14:15], v[78:79], -v[90:91]
	v_mul_f64 v[104:105], v[24:25], v[108:109]
	v_fma_f64 v[20:21], s[14:15], v[14:15], v[12:13]
	v_add_f64 v[18:19], v[82:83], -v[86:87]
	v_add_f64 v[22:23], v[76:77], -v[80:81]
	;; [unrolled: 1-line block ×3, first 2 shown]
	v_fmac_f64_e32 v[12:13], s[18:19], v[14:15]
	v_fmac_f64_e32 v[20:21], s[12:13], v[18:19]
	v_add_f64 v[22:23], v[22:23], v[24:25]
	v_fmac_f64_e32 v[12:13], s[20:21], v[18:19]
	v_fmac_f64_e32 v[20:21], s[16:17], v[22:23]
	;; [unrolled: 1-line block ×3, first 2 shown]
	v_add_f64 v[22:23], v[76:77], v[88:89]
	v_fmac_f64_e32 v[8:9], -0.5, v[22:23]
	v_fma_f64 v[24:25], s[18:19], v[18:19], v[8:9]
	v_fmac_f64_e32 v[8:9], s[14:15], v[18:19]
	v_fmac_f64_e32 v[24:25], s[12:13], v[14:15]
	;; [unrolled: 1-line block ×3, first 2 shown]
	v_add_f64 v[14:15], v[10:11], v[78:79]
	v_add_f64 v[14:15], v[14:15], v[82:83]
	v_add_f64 v[14:15], v[14:15], v[86:87]
	v_fmac_f64_e32 v[104:105], v[26:27], v[106:107]
	v_add_f64 v[22:23], v[80:81], -v[76:77]
	v_add_f64 v[26:27], v[84:85], -v[88:89]
	v_add_f64 v[18:19], v[14:15], v[90:91]
	v_add_f64 v[14:15], v[82:83], v[86:87]
	;; [unrolled: 1-line block ×3, first 2 shown]
	v_fma_f64 v[14:15], -0.5, v[14:15], v[10:11]
	v_add_f64 v[44:45], v[76:77], -v[88:89]
	v_fmac_f64_e32 v[36:37], v[58:59], v[122:123]
	v_fmac_f64_e32 v[24:25], s[16:17], v[22:23]
	;; [unrolled: 1-line block ×3, first 2 shown]
	v_fma_f64 v[22:23], s[18:19], v[44:45], v[14:15]
	v_add_f64 v[46:47], v[80:81], -v[84:85]
	v_add_f64 v[26:27], v[78:79], -v[82:83]
	;; [unrolled: 1-line block ×3, first 2 shown]
	v_fmac_f64_e32 v[14:15], s[14:15], v[44:45]
	v_fmac_f64_e32 v[22:23], s[20:21], v[46:47]
	v_add_f64 v[26:27], v[26:27], v[58:59]
	v_fmac_f64_e32 v[14:15], s[12:13], v[46:47]
	v_fmac_f64_e32 v[22:23], s[16:17], v[26:27]
	;; [unrolled: 1-line block ×3, first 2 shown]
	v_add_f64 v[26:27], v[78:79], v[90:91]
	v_fmac_f64_e32 v[10:11], -0.5, v[26:27]
	v_fma_f64 v[26:27], s[14:15], v[46:47], v[10:11]
	v_add_f64 v[58:59], v[82:83], -v[78:79]
	v_add_f64 v[60:61], v[86:87], -v[90:91]
	v_fmac_f64_e32 v[10:11], s[18:19], v[46:47]
	v_fmac_f64_e32 v[26:27], s[20:21], v[44:45]
	v_add_f64 v[58:59], v[58:59], v[60:61]
	v_fmac_f64_e32 v[10:11], s[12:13], v[44:45]
	v_add_f64 v[46:47], v[96:97], v[100:101]
	v_mul_f64 v[38:39], v[68:69], v[120:121]
	v_fmac_f64_e32 v[26:27], s[16:17], v[58:59]
	v_fmac_f64_e32 v[10:11], s[16:17], v[58:59]
	v_fma_f64 v[58:59], -0.5, v[46:47], v[4:5]
	v_add_f64 v[46:47], v[94:95], -v[104:105]
	v_fmac_f64_e32 v[38:39], v[70:71], v[118:119]
	v_mul_f64 v[48:49], v[72:73], v[116:117]
	v_fma_f64 v[68:69], s[14:15], v[46:47], v[58:59]
	v_add_f64 v[60:61], v[98:99], -v[102:103]
	v_add_f64 v[70:71], v[92:93], -v[96:97]
	;; [unrolled: 1-line block ×3, first 2 shown]
	v_fmac_f64_e32 v[58:59], s[18:19], v[46:47]
	v_fmac_f64_e32 v[68:69], s[12:13], v[60:61]
	v_add_f64 v[70:71], v[70:71], v[72:73]
	v_fmac_f64_e32 v[58:59], s[20:21], v[60:61]
	v_add_f64 v[44:45], v[4:5], v[92:93]
	v_fmac_f64_e32 v[68:69], s[16:17], v[70:71]
	v_fmac_f64_e32 v[58:59], s[16:17], v[70:71]
	v_add_f64 v[70:71], v[92:93], v[62:63]
	v_add_f64 v[44:45], v[44:45], v[96:97]
	v_fmac_f64_e32 v[4:5], -0.5, v[70:71]
	v_fmac_f64_e32 v[48:49], v[74:75], v[114:115]
	v_add_f64 v[44:45], v[44:45], v[100:101]
	v_fma_f64 v[72:73], s[18:19], v[60:61], v[4:5]
	v_add_f64 v[70:71], v[96:97], -v[92:93]
	v_add_f64 v[74:75], v[100:101], -v[62:63]
	v_fmac_f64_e32 v[4:5], s[14:15], v[60:61]
	v_add_f64 v[60:61], v[98:99], v[102:103]
	v_add_f64 v[44:45], v[44:45], v[62:63]
	v_fmac_f64_e32 v[72:73], s[12:13], v[46:47]
	v_add_f64 v[70:71], v[70:71], v[74:75]
	v_fmac_f64_e32 v[4:5], s[20:21], v[46:47]
	v_fma_f64 v[60:61], -0.5, v[60:61], v[6:7]
	v_add_f64 v[62:63], v[92:93], -v[62:63]
	v_fmac_f64_e32 v[72:73], s[16:17], v[70:71]
	v_fmac_f64_e32 v[4:5], s[16:17], v[70:71]
	v_fma_f64 v[70:71], s[18:19], v[62:63], v[60:61]
	v_add_f64 v[76:77], v[96:97], -v[100:101]
	v_add_f64 v[74:75], v[94:95], -v[98:99]
	;; [unrolled: 1-line block ×3, first 2 shown]
	v_fmac_f64_e32 v[60:61], s[14:15], v[62:63]
	v_fmac_f64_e32 v[70:71], s[20:21], v[76:77]
	v_add_f64 v[74:75], v[74:75], v[78:79]
	v_fmac_f64_e32 v[60:61], s[12:13], v[76:77]
	v_fmac_f64_e32 v[70:71], s[16:17], v[74:75]
	;; [unrolled: 1-line block ×3, first 2 shown]
	v_add_f64 v[74:75], v[94:95], v[104:105]
	v_add_f64 v[46:47], v[6:7], v[94:95]
	v_fmac_f64_e32 v[6:7], -0.5, v[74:75]
	v_fma_f64 v[74:75], s[14:15], v[76:77], v[6:7]
	v_fmac_f64_e32 v[6:7], s[18:19], v[76:77]
	v_fmac_f64_e32 v[74:75], s[20:21], v[62:63]
	;; [unrolled: 1-line block ×3, first 2 shown]
	v_add_f64 v[62:63], v[0:1], v[50:51]
	v_add_f64 v[62:63], v[62:63], v[52:53]
	;; [unrolled: 1-line block ×3, first 2 shown]
	v_add_f64 v[78:79], v[98:99], -v[94:95]
	v_add_f64 v[80:81], v[102:103], -v[104:105]
	v_add_f64 v[76:77], v[62:63], v[56:57]
	v_add_f64 v[62:63], v[52:53], v[54:55]
	;; [unrolled: 1-line block ×3, first 2 shown]
	v_fma_f64 v[80:81], -0.5, v[62:63], v[0:1]
	v_add_f64 v[62:63], v[34:35], -v[48:49]
	v_fmac_f64_e32 v[74:75], s[16:17], v[78:79]
	v_fmac_f64_e32 v[6:7], s[16:17], v[78:79]
	v_fma_f64 v[84:85], s[14:15], v[62:63], v[80:81]
	v_add_f64 v[78:79], v[36:37], -v[38:39]
	v_add_f64 v[82:83], v[50:51], -v[52:53]
	;; [unrolled: 1-line block ×3, first 2 shown]
	v_fmac_f64_e32 v[80:81], s[18:19], v[62:63]
	v_fmac_f64_e32 v[84:85], s[12:13], v[78:79]
	v_add_f64 v[82:83], v[82:83], v[86:87]
	v_fmac_f64_e32 v[80:81], s[20:21], v[78:79]
	v_fmac_f64_e32 v[84:85], s[16:17], v[82:83]
	;; [unrolled: 1-line block ×3, first 2 shown]
	v_add_f64 v[82:83], v[50:51], v[56:57]
	v_fmac_f64_e32 v[0:1], -0.5, v[82:83]
	v_fma_f64 v[88:89], s[18:19], v[78:79], v[0:1]
	v_fmac_f64_e32 v[0:1], s[14:15], v[78:79]
	v_fmac_f64_e32 v[88:89], s[12:13], v[62:63]
	;; [unrolled: 1-line block ×3, first 2 shown]
	v_add_f64 v[62:63], v[2:3], v[34:35]
	v_add_f64 v[62:63], v[62:63], v[36:37]
	v_add_f64 v[82:83], v[52:53], -v[50:51]
	v_add_f64 v[86:87], v[54:55], -v[56:57]
	v_add_f64 v[62:63], v[62:63], v[38:39]
	v_add_f64 v[82:83], v[82:83], v[86:87]
	;; [unrolled: 1-line block ×4, first 2 shown]
	v_fmac_f64_e32 v[88:89], s[16:17], v[82:83]
	v_fmac_f64_e32 v[0:1], s[16:17], v[82:83]
	v_fma_f64 v[82:83], -0.5, v[62:63], v[2:3]
	v_add_f64 v[50:51], v[50:51], -v[56:57]
	v_fma_f64 v[86:87], s[18:19], v[50:51], v[82:83]
	v_add_f64 v[52:53], v[52:53], -v[54:55]
	v_add_f64 v[54:55], v[34:35], -v[36:37]
	;; [unrolled: 1-line block ×3, first 2 shown]
	v_fmac_f64_e32 v[82:83], s[14:15], v[50:51]
	v_add_f64 v[46:47], v[46:47], v[98:99]
	v_fmac_f64_e32 v[86:87], s[20:21], v[52:53]
	v_add_f64 v[54:55], v[54:55], v[56:57]
	;; [unrolled: 2-line block ×3, first 2 shown]
	v_fmac_f64_e32 v[86:87], s[16:17], v[54:55]
	v_fmac_f64_e32 v[82:83], s[16:17], v[54:55]
	v_add_f64 v[54:55], v[34:35], v[48:49]
	ds_write_b128 v30, v[16:19]
	ds_write_b128 v30, v[20:23] offset:1056
	ds_write_b128 v30, v[24:27] offset:2112
	;; [unrolled: 1-line block ×3, first 2 shown]
	v_mul_u32_u24_e32 v8, 0x14a, v33
	v_add_f64 v[46:47], v[46:47], v[104:105]
	v_fmac_f64_e32 v[2:3], -0.5, v[54:55]
	v_add_lshl_u32 v8, v8, v41, 4
	v_fma_f64 v[90:91], s[14:15], v[52:53], v[2:3]
	v_add_f64 v[34:35], v[36:37], -v[34:35]
	v_add_f64 v[36:37], v[38:39], -v[48:49]
	v_fmac_f64_e32 v[2:3], s[18:19], v[52:53]
	ds_write_b128 v30, v[12:15] offset:4224
	ds_write_b128 v8, v[44:47]
	ds_write_b128 v8, v[68:71] offset:1056
	ds_write_b128 v8, v[72:75] offset:2112
	;; [unrolled: 1-line block ×3, first 2 shown]
	v_mad_legacy_u16 v4, v66, s22, v67
	v_fmac_f64_e32 v[90:91], s[20:21], v[50:51]
	v_add_f64 v[34:35], v[34:35], v[36:37]
	v_fmac_f64_e32 v[2:3], s[12:13], v[50:51]
	v_lshlrev_b32_e32 v4, 4, v4
	v_lshlrev_b32_e32 v30, 6, v194
	v_fmac_f64_e32 v[90:91], s[16:17], v[34:35]
	v_fmac_f64_e32 v[2:3], s[16:17], v[34:35]
	ds_write_b128 v8, v[58:61] offset:4224
	ds_write_b128 v4, v[76:79]
	ds_write_b128 v4, v[84:87] offset:1056
	ds_write_b128 v4, v[88:91] offset:2112
	ds_write_b128 v4, v[0:3] offset:3168
	v_lshl_add_u64 v[0:1], s[8:9], 0, v[30:31]
	v_add_co_u32_e64 v2, s[2:3], s24, v0
	s_mov_b64 s[22:23], 0x13f0
	s_nop 0
	v_addc_co_u32_e64 v3, s[2:3], 0, v1, s[2:3]
	ds_write_b128 v4, v[80:83] offset:4224
	s_waitcnt lgkmcnt(0)
	s_barrier
	global_load_dwordx4 v[188:191], v[2:3], off offset:1008
	v_lshl_add_u64 v[0:1], v[0:1], 0, s[22:23]
	v_lshlrev_b32_e32 v30, 6, v40
	global_load_dwordx4 v[200:203], v[0:1], off offset:16
	global_load_dwordx4 v[196:199], v[0:1], off offset:32
	;; [unrolled: 1-line block ×3, first 2 shown]
	v_lshl_add_u64 v[0:1], s[8:9], 0, v[30:31]
	v_add_co_u32_e64 v2, s[2:3], s24, v0
	v_accvgpr_write_b32 a181, v8
	s_nop 0
	v_addc_co_u32_e64 v3, s[2:3], 0, v1, s[2:3]
	v_lshl_add_u64 v[0:1], v[0:1], 0, s[22:23]
	global_load_dwordx4 v[208:211], v[2:3], off offset:1008
	global_load_dwordx4 v[220:223], v[0:1], off offset:16
	;; [unrolled: 1-line block ×4, first 2 shown]
	v_lshlrev_b64 v[0:1], 6, v[42:43]
	v_lshl_add_u64 v[0:1], s[8:9], 0, v[0:1]
	v_add_co_u32_e64 v2, s[2:3], s24, v0
	v_accvgpr_write_b32 a182, v4
	s_nop 0
	v_addc_co_u32_e64 v3, s[2:3], 0, v1, s[2:3]
	global_load_dwordx4 v[224:227], v[2:3], off offset:1008
	v_lshl_add_u64 v[0:1], v[0:1], 0, s[22:23]
	global_load_dwordx4 v[236:239], v[0:1], off offset:16
	global_load_dwordx4 v[232:235], v[0:1], off offset:32
	;; [unrolled: 1-line block ×3, first 2 shown]
	ds_read_b128 v[4:7], v64
	ds_read_b128 v[0:3], v64 offset:1760
	ds_read_b128 v[8:11], v64 offset:10560
	;; [unrolled: 1-line block ×14, first 2 shown]
	v_accvgpr_write_b32 a155, v113
	v_accvgpr_write_b32 a151, v109
	;; [unrolled: 1-line block ×24, first 2 shown]
	s_waitcnt vmcnt(11) lgkmcnt(8)
	v_mul_f64 v[34:35], v[26:27], v[190:191]
	v_fma_f64 v[60:61], v[24:25], v[188:189], -v[34:35]
	v_mul_f64 v[62:63], v[24:25], v[190:191]
	s_waitcnt vmcnt(10)
	v_mul_f64 v[24:25], v[10:11], v[202:203]
	v_fma_f64 v[68:69], v[8:9], v[200:201], -v[24:25]
	v_mul_f64 v[70:71], v[8:9], v[202:203]
	s_waitcnt vmcnt(9) lgkmcnt(4)
	v_mul_f64 v[8:9], v[42:43], v[198:199]
	v_fma_f64 v[72:73], v[40:41], v[196:197], -v[8:9]
	v_mul_f64 v[74:75], v[40:41], v[198:199]
	s_waitcnt vmcnt(8)
	v_mul_f64 v[8:9], v[18:19], v[194:195]
	v_fmac_f64_e32 v[74:75], v[42:43], v[196:197]
	v_fma_f64 v[42:43], v[16:17], v[192:193], -v[8:9]
	s_waitcnt vmcnt(7)
	v_mul_f64 v[8:9], v[32:33], v[210:211]
	v_fma_f64 v[78:79], v[30:31], v[208:209], -v[8:9]
	s_waitcnt vmcnt(6)
	v_mul_f64 v[8:9], v[14:15], v[222:223]
	v_fma_f64 v[82:83], v[12:13], v[220:221], -v[8:9]
	s_waitcnt vmcnt(5) lgkmcnt(2)
	v_mul_f64 v[8:9], v[50:51], v[218:219]
	v_fma_f64 v[86:87], v[48:49], v[216:217], -v[8:9]
	s_waitcnt vmcnt(4)
	v_mul_f64 v[8:9], v[22:23], v[214:215]
	v_fma_f64 v[90:91], v[20:21], v[212:213], -v[8:9]
	s_waitcnt vmcnt(3)
	;; [unrolled: 3-line block ×3, first 2 shown]
	v_mul_f64 v[8:9], v[46:47], v[238:239]
	v_mul_f64 v[24:25], v[36:37], v[226:227]
	v_fma_f64 v[36:37], v[44:45], v[236:237], -v[8:9]
	s_waitcnt vmcnt(1) lgkmcnt(1)
	v_mul_f64 v[8:9], v[54:55], v[234:235]
	v_fmac_f64_e32 v[24:25], v[38:39], v[224:225]
	v_fma_f64 v[38:39], v[52:53], v[232:233], -v[8:9]
	s_waitcnt vmcnt(0) lgkmcnt(0)
	v_mul_f64 v[8:9], v[58:59], v[230:231]
	v_fma_f64 v[40:41], v[56:57], v[228:229], -v[8:9]
	v_add_f64 v[8:9], v[4:5], v[60:61]
	v_add_f64 v[8:9], v[8:9], v[68:69]
	v_mul_f64 v[76:77], v[16:17], v[194:195]
	v_add_f64 v[8:9], v[8:9], v[72:73]
	v_fmac_f64_e32 v[62:63], v[26:27], v[188:189]
	v_fmac_f64_e32 v[76:77], v[18:19], v[192:193]
	v_mul_f64 v[84:85], v[12:13], v[222:223]
	v_add_f64 v[12:13], v[8:9], v[42:43]
	v_add_f64 v[8:9], v[68:69], v[72:73]
	v_fmac_f64_e32 v[70:71], v[10:11], v[200:201]
	v_fma_f64 v[8:9], -0.5, v[8:9], v[4:5]
	v_add_f64 v[10:11], v[62:63], -v[76:77]
	v_fmac_f64_e32 v[84:85], v[14:15], v[220:221]
	v_mul_f64 v[92:93], v[20:21], v[214:215]
	v_fma_f64 v[16:17], s[14:15], v[10:11], v[8:9]
	v_add_f64 v[14:15], v[70:71], -v[74:75]
	v_add_f64 v[18:19], v[60:61], -v[68:69]
	;; [unrolled: 1-line block ×3, first 2 shown]
	v_fmac_f64_e32 v[8:9], s[18:19], v[10:11]
	v_fmac_f64_e32 v[16:17], s[12:13], v[14:15]
	v_add_f64 v[18:19], v[18:19], v[20:21]
	v_fmac_f64_e32 v[8:9], s[20:21], v[14:15]
	v_fmac_f64_e32 v[16:17], s[16:17], v[18:19]
	;; [unrolled: 1-line block ×3, first 2 shown]
	v_add_f64 v[18:19], v[60:61], v[42:43]
	v_fmac_f64_e32 v[4:5], -0.5, v[18:19]
	v_fma_f64 v[20:21], s[18:19], v[14:15], v[4:5]
	v_fmac_f64_e32 v[4:5], s[14:15], v[14:15]
	v_fmac_f64_e32 v[20:21], s[12:13], v[10:11]
	;; [unrolled: 1-line block ×3, first 2 shown]
	v_add_f64 v[10:11], v[6:7], v[62:63]
	v_add_f64 v[10:11], v[10:11], v[70:71]
	;; [unrolled: 1-line block ×3, first 2 shown]
	v_fmac_f64_e32 v[92:93], v[22:23], v[212:213]
	v_add_f64 v[18:19], v[68:69], -v[60:61]
	v_add_f64 v[22:23], v[72:73], -v[42:43]
	v_add_f64 v[14:15], v[10:11], v[76:77]
	v_add_f64 v[10:11], v[70:71], v[74:75]
	v_mul_f64 v[26:27], v[44:45], v[238:239]
	v_add_f64 v[18:19], v[18:19], v[22:23]
	v_fma_f64 v[10:11], -0.5, v[10:11], v[6:7]
	v_add_f64 v[42:43], v[60:61], -v[42:43]
	v_fmac_f64_e32 v[26:27], v[46:47], v[236:237]
	v_fmac_f64_e32 v[20:21], s[16:17], v[18:19]
	;; [unrolled: 1-line block ×3, first 2 shown]
	v_fma_f64 v[18:19], s[18:19], v[42:43], v[10:11]
	v_add_f64 v[44:45], v[68:69], -v[72:73]
	v_add_f64 v[22:23], v[62:63], -v[70:71]
	;; [unrolled: 1-line block ×3, first 2 shown]
	v_fmac_f64_e32 v[10:11], s[14:15], v[42:43]
	v_fmac_f64_e32 v[18:19], s[20:21], v[44:45]
	v_add_f64 v[22:23], v[22:23], v[46:47]
	v_fmac_f64_e32 v[10:11], s[12:13], v[44:45]
	v_fmac_f64_e32 v[18:19], s[16:17], v[22:23]
	v_fmac_f64_e32 v[10:11], s[16:17], v[22:23]
	v_add_f64 v[22:23], v[62:63], v[76:77]
	v_fmac_f64_e32 v[6:7], -0.5, v[22:23]
	v_mul_f64 v[80:81], v[30:31], v[210:211]
	v_mul_f64 v[88:89], v[48:49], v[218:219]
	v_fma_f64 v[22:23], s[14:15], v[44:45], v[6:7]
	v_add_f64 v[46:47], v[70:71], -v[62:63]
	v_add_f64 v[48:49], v[74:75], -v[76:77]
	v_fmac_f64_e32 v[6:7], s[18:19], v[44:45]
	v_fmac_f64_e32 v[80:81], v[32:33], v[208:209]
	;; [unrolled: 1-line block ×3, first 2 shown]
	v_add_f64 v[46:47], v[46:47], v[48:49]
	v_fmac_f64_e32 v[6:7], s[12:13], v[42:43]
	v_add_f64 v[44:45], v[82:83], v[86:87]
	v_fmac_f64_e32 v[88:89], v[50:51], v[216:217]
	v_mul_f64 v[30:31], v[52:53], v[234:235]
	v_fmac_f64_e32 v[22:23], s[16:17], v[46:47]
	v_fmac_f64_e32 v[6:7], s[16:17], v[46:47]
	v_fma_f64 v[46:47], -0.5, v[44:45], v[0:1]
	v_add_f64 v[44:45], v[80:81], -v[92:93]
	v_fmac_f64_e32 v[30:31], v[54:55], v[232:233]
	v_fma_f64 v[50:51], s[14:15], v[44:45], v[46:47]
	v_add_f64 v[48:49], v[84:85], -v[88:89]
	v_add_f64 v[52:53], v[78:79], -v[82:83]
	;; [unrolled: 1-line block ×3, first 2 shown]
	v_fmac_f64_e32 v[46:47], s[18:19], v[44:45]
	v_fmac_f64_e32 v[50:51], s[12:13], v[48:49]
	v_add_f64 v[52:53], v[52:53], v[54:55]
	v_fmac_f64_e32 v[46:47], s[20:21], v[48:49]
	v_fmac_f64_e32 v[50:51], s[16:17], v[52:53]
	;; [unrolled: 1-line block ×3, first 2 shown]
	v_add_f64 v[52:53], v[78:79], v[90:91]
	v_add_f64 v[42:43], v[0:1], v[78:79]
	v_fmac_f64_e32 v[0:1], -0.5, v[52:53]
	v_mul_f64 v[32:33], v[56:57], v[230:231]
	v_fma_f64 v[54:55], s[18:19], v[48:49], v[0:1]
	v_add_f64 v[52:53], v[82:83], -v[78:79]
	v_add_f64 v[56:57], v[86:87], -v[90:91]
	v_fmac_f64_e32 v[0:1], s[14:15], v[48:49]
	v_add_f64 v[48:49], v[84:85], v[88:89]
	v_fmac_f64_e32 v[32:33], v[58:59], v[228:229]
	v_fmac_f64_e32 v[54:55], s[12:13], v[44:45]
	v_add_f64 v[52:53], v[52:53], v[56:57]
	v_fmac_f64_e32 v[0:1], s[20:21], v[44:45]
	v_fma_f64 v[48:49], -0.5, v[48:49], v[2:3]
	v_add_f64 v[58:59], v[78:79], -v[90:91]
	v_fmac_f64_e32 v[54:55], s[16:17], v[52:53]
	v_fmac_f64_e32 v[0:1], s[16:17], v[52:53]
	v_fma_f64 v[52:53], s[18:19], v[58:59], v[48:49]
	v_add_f64 v[60:61], v[82:83], -v[86:87]
	v_add_f64 v[56:57], v[80:81], -v[84:85]
	;; [unrolled: 1-line block ×3, first 2 shown]
	v_fmac_f64_e32 v[48:49], s[14:15], v[58:59]
	v_fmac_f64_e32 v[52:53], s[20:21], v[60:61]
	v_add_f64 v[56:57], v[56:57], v[62:63]
	v_fmac_f64_e32 v[48:49], s[12:13], v[60:61]
	v_fmac_f64_e32 v[52:53], s[16:17], v[56:57]
	;; [unrolled: 1-line block ×3, first 2 shown]
	v_add_f64 v[56:57], v[80:81], v[92:93]
	v_add_f64 v[44:45], v[2:3], v[80:81]
	v_fmac_f64_e32 v[2:3], -0.5, v[56:57]
	v_fma_f64 v[56:57], s[14:15], v[60:61], v[2:3]
	v_add_f64 v[62:63], v[84:85], -v[80:81]
	v_add_f64 v[68:69], v[88:89], -v[92:93]
	v_fmac_f64_e32 v[2:3], s[18:19], v[60:61]
	v_add_f64 v[60:61], v[36:37], v[38:39]
	v_fmac_f64_e32 v[56:57], s[20:21], v[58:59]
	v_add_f64 v[62:63], v[62:63], v[68:69]
	v_fmac_f64_e32 v[2:3], s[12:13], v[58:59]
	v_fma_f64 v[248:249], -0.5, v[60:61], v[240:241]
	v_add_f64 v[60:61], v[24:25], -v[32:33]
	v_fmac_f64_e32 v[56:57], s[16:17], v[62:63]
	v_fmac_f64_e32 v[2:3], s[16:17], v[62:63]
	v_fma_f64 v[244:245], s[14:15], v[60:61], v[248:249]
	v_add_f64 v[62:63], v[26:27], -v[30:31]
	v_add_f64 v[68:69], v[34:35], -v[36:37]
	;; [unrolled: 1-line block ×3, first 2 shown]
	v_fmac_f64_e32 v[248:249], s[18:19], v[60:61]
	v_fmac_f64_e32 v[244:245], s[12:13], v[62:63]
	v_add_f64 v[68:69], v[68:69], v[70:71]
	v_fmac_f64_e32 v[248:249], s[20:21], v[62:63]
	v_fmac_f64_e32 v[244:245], s[16:17], v[68:69]
	;; [unrolled: 1-line block ×3, first 2 shown]
	v_add_f64 v[68:69], v[34:35], v[40:41]
	v_add_f64 v[58:59], v[240:241], v[34:35]
	v_fmac_f64_e32 v[240:241], -0.5, v[68:69]
	v_add_f64 v[58:59], v[58:59], v[36:37]
	v_fma_f64 v[252:253], s[18:19], v[62:63], v[240:241]
	v_fmac_f64_e32 v[240:241], s[14:15], v[62:63]
	v_add_f64 v[62:63], v[26:27], v[30:31]
	v_add_f64 v[58:59], v[58:59], v[38:39]
	v_add_f64 v[68:69], v[36:37], -v[34:35]
	v_fma_f64 v[250:251], -0.5, v[62:63], v[242:243]
	v_add_f64 v[34:35], v[34:35], -v[40:41]
	v_add_f64 v[58:59], v[58:59], v[40:41]
	v_add_f64 v[70:71], v[38:39], -v[40:41]
	v_fma_f64 v[246:247], s[18:19], v[34:35], v[250:251]
	v_add_f64 v[36:37], v[36:37], -v[38:39]
	v_add_f64 v[38:39], v[24:25], -v[26:27]
	;; [unrolled: 1-line block ×3, first 2 shown]
	v_fmac_f64_e32 v[250:251], s[14:15], v[34:35]
	v_fmac_f64_e32 v[246:247], s[20:21], v[36:37]
	v_add_f64 v[38:39], v[38:39], v[40:41]
	v_fmac_f64_e32 v[250:251], s[12:13], v[36:37]
	v_fmac_f64_e32 v[246:247], s[16:17], v[38:39]
	v_fmac_f64_e32 v[250:251], s[16:17], v[38:39]
	v_add_f64 v[38:39], v[24:25], v[32:33]
	v_fmac_f64_e32 v[252:253], s[12:13], v[60:61]
	v_fmac_f64_e32 v[240:241], s[20:21], v[60:61]
	v_add_f64 v[60:61], v[242:243], v[24:25]
	v_fmac_f64_e32 v[242:243], -0.5, v[38:39]
	v_add_f64 v[42:43], v[42:43], v[82:83]
	v_add_f64 v[44:45], v[44:45], v[84:85]
	;; [unrolled: 1-line block ×3, first 2 shown]
	v_fma_f64 v[254:255], s[14:15], v[36:37], v[242:243]
	v_add_f64 v[24:25], v[26:27], -v[24:25]
	v_add_f64 v[26:27], v[30:31], -v[32:33]
	v_fmac_f64_e32 v[242:243], s[18:19], v[36:37]
	v_add_f64 v[42:43], v[42:43], v[86:87]
	v_add_f64 v[44:45], v[44:45], v[88:89]
	;; [unrolled: 1-line block ×4, first 2 shown]
	v_fmac_f64_e32 v[254:255], s[20:21], v[34:35]
	v_add_f64 v[24:25], v[24:25], v[26:27]
	v_fmac_f64_e32 v[242:243], s[12:13], v[34:35]
	s_movk_i32 s12, 0x6000
	v_add_f64 v[42:43], v[42:43], v[90:91]
	v_add_f64 v[44:45], v[44:45], v[92:93]
	v_fmac_f64_e32 v[252:253], s[16:17], v[68:69]
	v_fmac_f64_e32 v[240:241], s[16:17], v[68:69]
	v_add_f64 v[60:61], v[60:61], v[32:33]
	v_fmac_f64_e32 v[254:255], s[16:17], v[24:25]
	v_fmac_f64_e32 v[242:243], s[16:17], v[24:25]
	ds_write_b128 v64, v[12:15]
	ds_write_b128 v64, v[16:19] offset:5280
	ds_write_b128 v64, v[20:23] offset:10560
	;; [unrolled: 1-line block ×14, first 2 shown]
	v_add_co_u32_e64 v0, s[2:3], s12, v28
	s_waitcnt lgkmcnt(0)
	s_nop 0
	v_addc_co_u32_e64 v1, s[2:3], 0, v29, s[2:3]
	s_barrier
	global_load_dwordx4 v[0:3], v[0:1], off offset:1824
	s_mov_b64 s[2:3], 0x6720
	v_lshl_add_u64 v[16:17], v[28:29], 0, s[2:3]
	global_load_dwordx4 v[4:7], v[16:17], off offset:2400
	s_movk_i32 s2, 0x7000
	v_add_co_u32_e64 v8, s[2:3], s2, v28
	s_nop 1
	v_addc_co_u32_e64 v9, s[2:3], 0, v29, s[2:3]
	global_load_dwordx4 v[8:11], v[8:9], off offset:2528
	s_mov_b32 s2, 0x8000
	v_add_co_u32_e64 v18, s[2:3], s2, v28
	s_nop 1
	v_addc_co_u32_e64 v19, s[2:3], 0, v29, s[2:3]
	global_load_dwordx4 v[12:15], v[18:19], off offset:832
	s_nop 0
	global_load_dwordx4 v[18:21], v[18:19], off offset:3232
	s_mov_b32 s2, 0x9000
	v_add_co_u32_e64 v26, s[2:3], s2, v28
	s_nop 1
	v_addc_co_u32_e64 v27, s[2:3], 0, v29, s[2:3]
	global_load_dwordx4 v[22:25], v[26:27], off offset:1536
	global_load_dwordx4 v[30:33], v[26:27], off offset:3936
	s_mov_b32 s2, 0xa000
	v_add_co_u32_e64 v26, s[2:3], s2, v28
	s_nop 1
	v_addc_co_u32_e64 v27, s[2:3], 0, v29, s[2:3]
	global_load_dwordx4 v[34:37], v[26:27], off offset:2240
	s_mov_b32 s2, 0xb000
	v_add_co_u32_e64 v26, s[2:3], s2, v28
	s_nop 1
	v_addc_co_u32_e64 v27, s[2:3], 0, v29, s[2:3]
	global_load_dwordx4 v[38:41], v[26:27], off offset:544
	global_load_dwordx4 v[42:45], v[26:27], off offset:2944
	s_mov_b32 s2, 0xc000
	v_add_co_u32_e64 v26, s[2:3], s2, v28
	s_nop 1
	v_addc_co_u32_e64 v27, s[2:3], 0, v29, s[2:3]
	global_load_dwordx4 v[26:29], v[26:27], off offset:1248
	ds_read_b128 v[46:49], v64
	ds_read_b128 v[50:53], v64 offset:2400
	s_waitcnt vmcnt(10) lgkmcnt(1)
	v_mul_f64 v[54:55], v[48:49], v[2:3]
	v_mul_f64 v[56:57], v[46:47], v[2:3]
	v_fma_f64 v[54:55], v[46:47], v[0:1], -v[54:55]
	v_fmac_f64_e32 v[56:57], v[48:49], v[0:1]
	ds_read_b128 v[46:49], v64 offset:4800
	s_waitcnt vmcnt(9) lgkmcnt(1)
	v_mul_f64 v[0:1], v[52:53], v[6:7]
	v_mul_f64 v[2:3], v[50:51], v[6:7]
	v_fma_f64 v[0:1], v[50:51], v[4:5], -v[0:1]
	v_fmac_f64_e32 v[2:3], v[52:53], v[4:5]
	ds_write_b128 v64, v[0:3] offset:2400
	ds_read_b128 v[0:3], v64 offset:7200
	s_waitcnt vmcnt(8) lgkmcnt(2)
	v_mul_f64 v[4:5], v[48:49], v[10:11]
	v_mul_f64 v[6:7], v[46:47], v[10:11]
	v_fma_f64 v[4:5], v[46:47], v[8:9], -v[4:5]
	v_fmac_f64_e32 v[6:7], v[48:49], v[8:9]
	ds_read_b128 v[8:11], v64 offset:9600
	ds_write_b128 v64, v[4:7] offset:4800
	s_waitcnt vmcnt(7) lgkmcnt(2)
	v_mul_f64 v[4:5], v[2:3], v[14:15]
	v_mul_f64 v[6:7], v[0:1], v[14:15]
	v_fma_f64 v[4:5], v[0:1], v[12:13], -v[4:5]
	v_fmac_f64_e32 v[6:7], v[2:3], v[12:13]
	ds_read_b128 v[0:3], v64 offset:12000
	ds_write_b128 v64, v[4:7] offset:7200
	;; [unrolled: 7-line block ×6, first 2 shown]
	s_waitcnt vmcnt(2) lgkmcnt(3)
	v_mul_f64 v[4:5], v[10:11], v[40:41]
	v_mul_f64 v[6:7], v[8:9], v[40:41]
	v_fma_f64 v[4:5], v[8:9], v[38:39], -v[4:5]
	v_fmac_f64_e32 v[6:7], v[10:11], v[38:39]
	ds_write_b128 v64, v[4:7] offset:19200
	ds_read_b128 v[4:7], v64 offset:24000
	s_waitcnt vmcnt(1) lgkmcnt(3)
	v_mul_f64 v[8:9], v[2:3], v[44:45]
	v_mul_f64 v[10:11], v[0:1], v[44:45]
	v_fma_f64 v[8:9], v[0:1], v[42:43], -v[8:9]
	v_fmac_f64_e32 v[10:11], v[2:3], v[42:43]
	s_waitcnt vmcnt(0) lgkmcnt(0)
	v_mul_f64 v[0:1], v[6:7], v[28:29]
	v_mul_f64 v[2:3], v[4:5], v[28:29]
	v_fma_f64 v[0:1], v[4:5], v[26:27], -v[0:1]
	v_fmac_f64_e32 v[2:3], v[6:7], v[26:27]
	ds_write_b128 v64, v[54:57]
	ds_write_b128 v64, v[8:11] offset:21600
	ds_write_b128 v64, v[0:3] offset:24000
	s_and_saveexec_b64 s[8:9], vcc
	s_cbranch_execz .LBB0_13
; %bb.12:
	global_load_dwordx4 v[4:7], v[16:17], off offset:1760
	ds_read_b128 v[0:3], v64 offset:1760
	v_add_co_u32_e64 v12, s[2:3], s24, v16
	s_waitcnt vmcnt(0) lgkmcnt(0)
	v_mul_f64 v[8:9], v[2:3], v[6:7]
	v_mul_f64 v[10:11], v[0:1], v[6:7]
	v_addc_co_u32_e64 v13, s[2:3], 0, v17, s[2:3]
	v_fma_f64 v[8:9], v[0:1], v[4:5], -v[8:9]
	v_fmac_f64_e32 v[10:11], v[2:3], v[4:5]
	global_load_dwordx4 v[4:7], v[12:13], off offset:64
	ds_read_b128 v[0:3], v64 offset:4160
	ds_write_b128 v64, v[8:11] offset:1760
	s_movk_i32 s2, 0x2000
	s_waitcnt vmcnt(0) lgkmcnt(1)
	v_mul_f64 v[8:9], v[2:3], v[6:7]
	v_mul_f64 v[10:11], v[0:1], v[6:7]
	v_fma_f64 v[8:9], v[0:1], v[4:5], -v[8:9]
	v_fmac_f64_e32 v[10:11], v[2:3], v[4:5]
	global_load_dwordx4 v[4:7], v[12:13], off offset:2464
	ds_read_b128 v[0:3], v64 offset:6560
	v_add_co_u32_e64 v12, s[2:3], s2, v16
	ds_write_b128 v64, v[8:11] offset:4160
	s_nop 0
	v_addc_co_u32_e64 v13, s[2:3], 0, v17, s[2:3]
	s_movk_i32 s2, 0x3000
	s_waitcnt vmcnt(0) lgkmcnt(1)
	v_mul_f64 v[8:9], v[2:3], v[6:7]
	v_mul_f64 v[10:11], v[0:1], v[6:7]
	v_fma_f64 v[8:9], v[0:1], v[4:5], -v[8:9]
	v_fmac_f64_e32 v[10:11], v[2:3], v[4:5]
	global_load_dwordx4 v[4:7], v[12:13], off offset:768
	ds_read_b128 v[0:3], v64 offset:8960
	ds_write_b128 v64, v[8:11] offset:6560
	s_waitcnt vmcnt(0) lgkmcnt(1)
	v_mul_f64 v[8:9], v[2:3], v[6:7]
	v_mul_f64 v[10:11], v[0:1], v[6:7]
	v_fma_f64 v[8:9], v[0:1], v[4:5], -v[8:9]
	v_fmac_f64_e32 v[10:11], v[2:3], v[4:5]
	global_load_dwordx4 v[4:7], v[12:13], off offset:3168
	ds_read_b128 v[0:3], v64 offset:11360
	v_add_co_u32_e64 v12, s[2:3], s2, v16
	ds_write_b128 v64, v[8:11] offset:8960
	s_nop 0
	v_addc_co_u32_e64 v13, s[2:3], 0, v17, s[2:3]
	s_movk_i32 s2, 0x4000
	s_waitcnt vmcnt(0) lgkmcnt(1)
	v_mul_f64 v[8:9], v[2:3], v[6:7]
	v_mul_f64 v[10:11], v[0:1], v[6:7]
	v_fma_f64 v[8:9], v[0:1], v[4:5], -v[8:9]
	v_fmac_f64_e32 v[10:11], v[2:3], v[4:5]
	global_load_dwordx4 v[4:7], v[12:13], off offset:1472
	ds_read_b128 v[0:3], v64 offset:13760
	ds_write_b128 v64, v[8:11] offset:11360
	s_waitcnt vmcnt(0) lgkmcnt(1)
	v_mul_f64 v[8:9], v[2:3], v[6:7]
	v_mul_f64 v[10:11], v[0:1], v[6:7]
	v_fma_f64 v[8:9], v[0:1], v[4:5], -v[8:9]
	v_fmac_f64_e32 v[10:11], v[2:3], v[4:5]
	global_load_dwordx4 v[4:7], v[12:13], off offset:3872
	ds_read_b128 v[0:3], v64 offset:16160
	ds_write_b128 v64, v[8:11] offset:13760
	s_waitcnt vmcnt(0) lgkmcnt(1)
	v_mul_f64 v[8:9], v[2:3], v[6:7]
	v_mul_f64 v[10:11], v[0:1], v[6:7]
	v_fma_f64 v[8:9], v[0:1], v[4:5], -v[8:9]
	v_fmac_f64_e32 v[10:11], v[2:3], v[4:5]
	v_add_co_u32_e64 v4, s[2:3], s2, v16
	ds_read_b128 v[0:3], v64 offset:18560
	s_nop 0
	v_addc_co_u32_e64 v5, s[2:3], 0, v17, s[2:3]
	global_load_dwordx4 v[4:7], v[4:5], off offset:2176
	s_movk_i32 s2, 0x5000
	v_add_co_u32_e64 v12, s[2:3], s2, v16
	ds_write_b128 v64, v[8:11] offset:16160
	s_nop 0
	v_addc_co_u32_e64 v13, s[2:3], 0, v17, s[2:3]
	s_waitcnt vmcnt(0) lgkmcnt(1)
	v_mul_f64 v[8:9], v[2:3], v[6:7]
	v_mul_f64 v[10:11], v[0:1], v[6:7]
	v_fma_f64 v[8:9], v[0:1], v[4:5], -v[8:9]
	v_fmac_f64_e32 v[10:11], v[2:3], v[4:5]
	global_load_dwordx4 v[4:7], v[12:13], off offset:480
	ds_read_b128 v[0:3], v64 offset:20960
	ds_write_b128 v64, v[8:11] offset:18560
	s_waitcnt vmcnt(0) lgkmcnt(1)
	v_mul_f64 v[8:9], v[2:3], v[6:7]
	v_mul_f64 v[10:11], v[0:1], v[6:7]
	v_fma_f64 v[8:9], v[0:1], v[4:5], -v[8:9]
	v_fmac_f64_e32 v[10:11], v[2:3], v[4:5]
	global_load_dwordx4 v[4:7], v[12:13], off offset:2880
	ds_read_b128 v[0:3], v64 offset:23360
	ds_write_b128 v64, v[8:11] offset:20960
	s_waitcnt vmcnt(0) lgkmcnt(1)
	v_mul_f64 v[8:9], v[2:3], v[6:7]
	v_mul_f64 v[10:11], v[0:1], v[6:7]
	v_fma_f64 v[8:9], v[0:1], v[4:5], -v[8:9]
	v_fmac_f64_e32 v[10:11], v[2:3], v[4:5]
	v_add_co_u32_e64 v4, s[2:3], s12, v16
	ds_read_b128 v[0:3], v64 offset:25760
	s_nop 0
	v_addc_co_u32_e64 v5, s[2:3], 0, v17, s[2:3]
	global_load_dwordx4 v[4:7], v[4:5], off offset:1184
	ds_write_b128 v64, v[8:11] offset:23360
	s_waitcnt vmcnt(0) lgkmcnt(1)
	v_mul_f64 v[8:9], v[2:3], v[6:7]
	v_mul_f64 v[10:11], v[0:1], v[6:7]
	v_fma_f64 v[8:9], v[0:1], v[4:5], -v[8:9]
	v_fmac_f64_e32 v[10:11], v[2:3], v[4:5]
	ds_write_b128 v64, v[8:11] offset:25760
.LBB0_13:
	s_or_b64 exec, exec, s[8:9]
	s_waitcnt lgkmcnt(0)
	s_barrier
	ds_read_b128 v[32:35], v64
	ds_read_b128 v[40:43], v64 offset:2400
	ds_read_b128 v[28:31], v64 offset:4800
	;; [unrolled: 1-line block ×10, first 2 shown]
	s_and_saveexec_b64 s[2:3], vcc
	s_cbranch_execz .LBB0_15
; %bb.14:
	ds_read_b128 v[244:247], v64 offset:1760
	ds_read_b128 v[252:255], v64 offset:4160
	;; [unrolled: 1-line block ×11, first 2 shown]
.LBB0_15:
	s_or_b64 exec, exec, s[2:3]
	s_waitcnt lgkmcnt(9)
	v_add_f64 v[24:25], v[32:33], v[40:41]
	v_add_f64 v[26:27], v[34:35], v[42:43]
	s_waitcnt lgkmcnt(8)
	v_add_f64 v[24:25], v[24:25], v[28:29]
	v_add_f64 v[26:27], v[26:27], v[30:31]
	s_waitcnt lgkmcnt(7)
	v_add_f64 v[24:25], v[24:25], v[16:17]
	v_add_f64 v[26:27], v[26:27], v[18:19]
	s_waitcnt lgkmcnt(6)
	v_add_f64 v[24:25], v[24:25], v[8:9]
	v_add_f64 v[26:27], v[26:27], v[10:11]
	s_waitcnt lgkmcnt(5)
	v_add_f64 v[24:25], v[24:25], v[0:1]
	v_add_f64 v[26:27], v[26:27], v[2:3]
	s_waitcnt lgkmcnt(4)
	v_add_f64 v[24:25], v[24:25], v[4:5]
	v_add_f64 v[26:27], v[26:27], v[6:7]
	s_waitcnt lgkmcnt(3)
	v_add_f64 v[24:25], v[24:25], v[12:13]
	v_add_f64 v[26:27], v[26:27], v[14:15]
	s_waitcnt lgkmcnt(2)
	v_add_f64 v[24:25], v[24:25], v[20:21]
	s_mov_b32 s8, 0xf8bb580b
	s_mov_b32 s14, 0x8eee2c13
	;; [unrolled: 1-line block ×5, first 2 shown]
	v_add_f64 v[26:27], v[26:27], v[22:23]
	s_waitcnt lgkmcnt(1)
	v_add_f64 v[24:25], v[24:25], v[36:37]
	s_waitcnt lgkmcnt(0)
	v_add_f64 v[46:47], v[42:43], v[70:71]
	v_add_f64 v[42:43], v[42:43], -v[70:71]
	s_mov_b32 s9, 0xbfe14ced
	s_mov_b32 s2, 0x8764f0ba
	s_mov_b32 s15, 0xbfed1bb4
	s_mov_b32 s12, 0xd9c712b6
	s_mov_b32 s19, 0xbfefac9e
	s_mov_b32 s16, 0x640f44db
	s_mov_b32 s23, 0xbfe82f19
	s_mov_b32 s20, 0x7f775887
	s_mov_b32 s29, 0xbfd207e7
	s_mov_b32 s24, 0x9bcd5057
	v_add_f64 v[26:27], v[26:27], v[38:39]
	v_add_f64 v[24:25], v[24:25], v[68:69]
	v_add_f64 v[44:45], v[40:41], v[68:69]
	v_add_f64 v[40:41], v[40:41], -v[68:69]
	v_mul_f64 v[48:49], v[42:43], s[8:9]
	s_mov_b32 s3, 0x3feaeb8c
	v_mul_f64 v[56:57], v[42:43], s[14:15]
	s_mov_b32 s13, 0x3fda9628
	;; [unrolled: 2-line block ×5, first 2 shown]
	v_add_f64 v[26:27], v[26:27], v[70:71]
	v_fma_f64 v[50:51], s[2:3], v[44:45], v[48:49]
	v_fma_f64 v[48:49], v[44:45], s[2:3], -v[48:49]
	v_fma_f64 v[58:59], s[12:13], v[44:45], v[56:57]
	v_fma_f64 v[56:57], v[44:45], s[12:13], -v[56:57]
	;; [unrolled: 2-line block ×5, first 2 shown]
	v_add_f64 v[50:51], v[32:33], v[50:51]
	v_mul_f64 v[52:53], v[46:47], s[2:3]
	s_mov_b32 s27, 0x3fe14ced
	s_mov_b32 s26, s8
	v_add_f64 v[48:49], v[32:33], v[48:49]
	v_add_f64 v[58:59], v[32:33], v[58:59]
	v_mul_f64 v[60:61], v[46:47], s[12:13]
	s_mov_b32 s37, 0x3fed1bb4
	s_mov_b32 s36, s14
	v_add_f64 v[56:57], v[32:33], v[56:57]
	;; [unrolled: 5-line block ×5, first 2 shown]
	v_add_f64 v[42:43], v[30:31], v[38:39]
	v_add_f64 v[30:31], v[30:31], -v[38:39]
	v_fma_f64 v[54:55], s[26:27], v[40:41], v[52:53]
	v_fmac_f64_e32 v[52:53], s[8:9], v[40:41]
	v_fma_f64 v[62:63], s[36:37], v[40:41], v[60:61]
	v_fmac_f64_e32 v[60:61], s[14:15], v[40:41]
	;; [unrolled: 2-line block ×5, first 2 shown]
	v_add_f64 v[40:41], v[28:29], v[36:37]
	v_add_f64 v[28:29], v[28:29], -v[36:37]
	v_mul_f64 v[36:37], v[30:31], s[14:15]
	v_fma_f64 v[38:39], s[12:13], v[40:41], v[36:37]
	v_mul_f64 v[44:45], v[42:43], s[12:13]
	v_fma_f64 v[36:37], v[40:41], s[12:13], -v[36:37]
	v_add_f64 v[54:55], v[34:35], v[54:55]
	v_add_f64 v[52:53], v[34:35], v[52:53]
	;; [unrolled: 1-line block ×10, first 2 shown]
	v_fma_f64 v[46:47], s[36:37], v[28:29], v[44:45]
	v_add_f64 v[36:37], v[36:37], v[48:49]
	v_fmac_f64_e32 v[44:45], s[14:15], v[28:29]
	v_mul_f64 v[48:49], v[30:31], s[22:23]
	v_add_f64 v[38:39], v[38:39], v[50:51]
	v_add_f64 v[44:45], v[44:45], v[52:53]
	v_fma_f64 v[50:51], s[20:21], v[40:41], v[48:49]
	v_mul_f64 v[52:53], v[42:43], s[20:21]
	v_fma_f64 v[48:49], v[40:41], s[20:21], -v[48:49]
	v_add_f64 v[46:47], v[46:47], v[54:55]
	v_fma_f64 v[54:55], s[38:39], v[28:29], v[52:53]
	v_add_f64 v[48:49], v[48:49], v[56:57]
	v_fmac_f64_e32 v[52:53], s[22:23], v[28:29]
	v_mul_f64 v[56:57], v[30:31], s[34:35]
	v_add_f64 v[50:51], v[50:51], v[58:59]
	v_add_f64 v[52:53], v[52:53], v[60:61]
	v_fma_f64 v[58:59], s[24:25], v[40:41], v[56:57]
	v_mul_f64 v[60:61], v[42:43], s[24:25]
	v_fma_f64 v[56:57], v[40:41], s[24:25], -v[56:57]
	v_add_f64 v[54:55], v[54:55], v[62:63]
	v_fma_f64 v[62:63], s[28:29], v[28:29], v[60:61]
	v_add_f64 v[56:57], v[56:57], v[68:69]
	v_fmac_f64_e32 v[60:61], s[34:35], v[28:29]
	v_mul_f64 v[68:69], v[30:31], s[30:31]
	v_add_f64 v[58:59], v[58:59], v[70:71]
	v_add_f64 v[60:61], v[60:61], v[72:73]
	v_fma_f64 v[70:71], s[16:17], v[40:41], v[68:69]
	v_mul_f64 v[72:73], v[42:43], s[16:17]
	v_mul_f64 v[42:43], v[42:43], s[2:3]
	v_add_f64 v[70:71], v[70:71], v[78:79]
	v_fma_f64 v[68:69], v[40:41], s[16:17], -v[68:69]
	v_mul_f64 v[30:31], v[30:31], s[26:27]
	v_fma_f64 v[78:79], s[8:9], v[28:29], v[42:43]
	v_fmac_f64_e32 v[42:43], s[26:27], v[28:29]
	v_add_f64 v[62:63], v[62:63], v[74:75]
	v_fma_f64 v[74:75], s[18:19], v[28:29], v[72:73]
	v_add_f64 v[68:69], v[68:69], v[76:77]
	v_fmac_f64_e32 v[72:73], s[30:31], v[28:29]
	v_fma_f64 v[76:77], s[2:3], v[40:41], v[30:31]
	v_fma_f64 v[30:31], v[40:41], s[2:3], -v[30:31]
	v_add_f64 v[28:29], v[42:43], v[34:35]
	v_add_f64 v[34:35], v[18:19], v[22:23]
	v_add_f64 v[18:19], v[18:19], -v[22:23]
	v_add_f64 v[30:31], v[30:31], v[32:33]
	v_add_f64 v[32:33], v[16:17], v[20:21]
	v_add_f64 v[16:17], v[16:17], -v[20:21]
	v_mul_f64 v[20:21], v[18:19], s[18:19]
	v_fma_f64 v[22:23], s[16:17], v[32:33], v[20:21]
	v_add_f64 v[22:23], v[22:23], v[38:39]
	v_mul_f64 v[38:39], v[34:35], s[16:17]
	v_fma_f64 v[40:41], s[30:31], v[16:17], v[38:39]
	v_fma_f64 v[20:21], v[32:33], s[16:17], -v[20:21]
	v_fmac_f64_e32 v[38:39], s[18:19], v[16:17]
	v_add_f64 v[20:21], v[20:21], v[36:37]
	v_add_f64 v[36:37], v[38:39], v[44:45]
	v_mul_f64 v[38:39], v[18:19], s[34:35]
	v_fma_f64 v[42:43], s[24:25], v[32:33], v[38:39]
	v_fma_f64 v[38:39], v[32:33], s[24:25], -v[38:39]
	v_mul_f64 v[44:45], v[34:35], s[24:25]
	v_add_f64 v[38:39], v[38:39], v[48:49]
	v_mul_f64 v[48:49], v[18:19], s[36:37]
	v_add_f64 v[40:41], v[40:41], v[46:47]
	v_add_f64 v[42:43], v[42:43], v[50:51]
	v_fma_f64 v[46:47], s[28:29], v[16:17], v[44:45]
	v_fmac_f64_e32 v[44:45], s[34:35], v[16:17]
	v_fma_f64 v[50:51], s[12:13], v[32:33], v[48:49]
	v_fma_f64 v[48:49], v[32:33], s[12:13], -v[48:49]
	v_add_f64 v[44:45], v[44:45], v[52:53]
	v_mul_f64 v[52:53], v[34:35], s[12:13]
	v_add_f64 v[48:49], v[48:49], v[56:57]
	v_mul_f64 v[56:57], v[18:19], s[8:9]
	v_add_f64 v[46:47], v[46:47], v[54:55]
	v_add_f64 v[50:51], v[50:51], v[58:59]
	v_fma_f64 v[54:55], s[14:15], v[16:17], v[52:53]
	v_fmac_f64_e32 v[52:53], s[36:37], v[16:17]
	v_fma_f64 v[58:59], s[2:3], v[32:33], v[56:57]
	v_fma_f64 v[56:57], v[32:33], s[2:3], -v[56:57]
	v_mul_f64 v[18:19], v[18:19], s[22:23]
	v_add_f64 v[52:53], v[52:53], v[60:61]
	v_mul_f64 v[60:61], v[34:35], s[2:3]
	v_add_f64 v[56:57], v[56:57], v[68:69]
	v_fma_f64 v[68:69], s[20:21], v[32:33], v[18:19]
	v_mul_f64 v[34:35], v[34:35], s[20:21]
	v_fma_f64 v[18:19], v[32:33], s[20:21], -v[18:19]
	v_add_f64 v[58:59], v[58:59], v[70:71]
	v_fma_f64 v[70:71], s[38:39], v[16:17], v[34:35]
	v_add_f64 v[18:19], v[18:19], v[30:31]
	v_fmac_f64_e32 v[34:35], s[22:23], v[16:17]
	v_add_f64 v[30:31], v[10:11], v[14:15]
	v_add_f64 v[10:11], v[10:11], -v[14:15]
	v_add_f64 v[54:55], v[54:55], v[62:63]
	v_fma_f64 v[62:63], s[26:27], v[16:17], v[60:61]
	v_fmac_f64_e32 v[60:61], s[8:9], v[16:17]
	v_add_f64 v[16:17], v[34:35], v[28:29]
	v_add_f64 v[28:29], v[8:9], v[12:13]
	v_add_f64 v[8:9], v[8:9], -v[12:13]
	v_mul_f64 v[12:13], v[10:11], s[22:23]
	v_fma_f64 v[14:15], s[20:21], v[28:29], v[12:13]
	v_add_f64 v[14:15], v[14:15], v[22:23]
	v_mul_f64 v[22:23], v[30:31], s[20:21]
	v_fma_f64 v[32:33], s[38:39], v[8:9], v[22:23]
	v_fma_f64 v[12:13], v[28:29], s[20:21], -v[12:13]
	v_fmac_f64_e32 v[22:23], s[22:23], v[8:9]
	v_add_f64 v[12:13], v[12:13], v[20:21]
	v_add_f64 v[20:21], v[22:23], v[36:37]
	v_mul_f64 v[22:23], v[10:11], s[30:31]
	v_fma_f64 v[34:35], s[16:17], v[28:29], v[22:23]
	v_mul_f64 v[36:37], v[30:31], s[16:17]
	v_fma_f64 v[22:23], v[28:29], s[16:17], -v[22:23]
	v_add_f64 v[32:33], v[32:33], v[40:41]
	v_fma_f64 v[40:41], s[18:19], v[8:9], v[36:37]
	v_add_f64 v[22:23], v[22:23], v[38:39]
	v_fmac_f64_e32 v[36:37], s[30:31], v[8:9]
	v_mul_f64 v[38:39], v[10:11], s[8:9]
	v_add_f64 v[34:35], v[34:35], v[42:43]
	v_add_f64 v[36:37], v[36:37], v[44:45]
	v_fma_f64 v[42:43], s[2:3], v[28:29], v[38:39]
	v_mul_f64 v[44:45], v[30:31], s[2:3]
	v_fma_f64 v[38:39], v[28:29], s[2:3], -v[38:39]
	v_add_f64 v[40:41], v[40:41], v[46:47]
	v_fma_f64 v[46:47], s[26:27], v[8:9], v[44:45]
	v_add_f64 v[38:39], v[38:39], v[48:49]
	v_fmac_f64_e32 v[44:45], s[8:9], v[8:9]
	v_mul_f64 v[48:49], v[10:11], s[28:29]
	v_add_f64 v[42:43], v[42:43], v[50:51]
	v_add_f64 v[44:45], v[44:45], v[52:53]
	v_fma_f64 v[50:51], s[24:25], v[28:29], v[48:49]
	v_mul_f64 v[52:53], v[30:31], s[24:25]
	v_mul_f64 v[30:31], v[30:31], s[12:13]
	v_add_f64 v[50:51], v[50:51], v[58:59]
	v_fma_f64 v[58:59], s[14:15], v[8:9], v[30:31]
	v_fmac_f64_e32 v[30:31], s[36:37], v[8:9]
	v_fma_f64 v[48:49], v[28:29], s[24:25], -v[48:49]
	v_mul_f64 v[10:11], v[10:11], s[36:37]
	v_add_f64 v[16:17], v[30:31], v[16:17]
	v_add_f64 v[30:31], v[2:3], v[6:7]
	v_add_f64 v[2:3], v[2:3], -v[6:7]
	v_add_f64 v[48:49], v[48:49], v[56:57]
	v_fma_f64 v[56:57], s[12:13], v[28:29], v[10:11]
	v_fma_f64 v[10:11], v[28:29], s[12:13], -v[10:11]
	v_add_f64 v[28:29], v[0:1], v[4:5]
	v_add_f64 v[0:1], v[0:1], -v[4:5]
	v_mul_f64 v[4:5], v[2:3], s[28:29]
	v_fma_f64 v[6:7], s[24:25], v[28:29], v[4:5]
	v_add_f64 v[46:47], v[46:47], v[54:55]
	v_fma_f64 v[54:55], s[34:35], v[8:9], v[52:53]
	v_fmac_f64_e32 v[52:53], s[28:29], v[8:9]
	v_add_f64 v[8:9], v[6:7], v[14:15]
	v_mul_f64 v[6:7], v[30:31], s[24:25]
	v_fma_f64 v[4:5], v[28:29], s[24:25], -v[4:5]
	v_add_f64 v[18:19], v[10:11], v[18:19]
	v_fma_f64 v[10:11], s[34:35], v[0:1], v[6:7]
	v_add_f64 v[12:13], v[4:5], v[12:13]
	v_fmac_f64_e32 v[6:7], s[28:29], v[0:1]
	v_mul_f64 v[4:5], v[2:3], s[26:27]
	v_add_f64 v[14:15], v[6:7], v[20:21]
	v_fma_f64 v[6:7], s[2:3], v[28:29], v[4:5]
	v_add_f64 v[104:105], v[6:7], v[34:35]
	v_mul_f64 v[6:7], v[30:31], s[2:3]
	v_fma_f64 v[4:5], v[28:29], s[2:3], -v[4:5]
	v_fma_f64 v[20:21], s[8:9], v[0:1], v[6:7]
	v_add_f64 v[108:109], v[4:5], v[22:23]
	v_fmac_f64_e32 v[6:7], s[26:27], v[0:1]
	v_mul_f64 v[4:5], v[2:3], s[22:23]
	v_add_f64 v[110:111], v[6:7], v[36:37]
	v_fma_f64 v[6:7], s[20:21], v[28:29], v[4:5]
	v_add_f64 v[112:113], v[6:7], v[42:43]
	v_mul_f64 v[6:7], v[30:31], s[20:21]
	v_fma_f64 v[4:5], v[28:29], s[20:21], -v[4:5]
	v_add_f64 v[76:77], v[76:77], v[84:85]
	v_add_f64 v[106:107], v[20:21], v[40:41]
	v_fma_f64 v[20:21], s[38:39], v[0:1], v[6:7]
	v_add_f64 v[116:117], v[4:5], v[38:39]
	v_fmac_f64_e32 v[6:7], s[22:23], v[0:1]
	v_mul_f64 v[4:5], v[2:3], s[36:37]
	v_add_f64 v[72:73], v[72:73], v[80:81]
	v_add_f64 v[68:69], v[68:69], v[76:77]
	;; [unrolled: 1-line block ×3, first 2 shown]
	v_fma_f64 v[6:7], s[12:13], v[28:29], v[4:5]
	v_fma_f64 v[4:5], v[28:29], s[12:13], -v[4:5]
	v_mul_f64 v[2:3], v[2:3], s[18:19]
	v_add_f64 v[60:61], v[60:61], v[72:73]
	v_add_f64 v[56:57], v[56:57], v[68:69]
	;; [unrolled: 1-line block ×3, first 2 shown]
	v_mul_f64 v[6:7], v[30:31], s[12:13]
	v_add_f64 v[124:125], v[4:5], v[48:49]
	v_fma_f64 v[4:5], s[16:17], v[28:29], v[2:3]
	v_add_f64 v[74:75], v[74:75], v[82:83]
	v_add_f64 v[52:53], v[52:53], v[60:61]
	;; [unrolled: 1-line block ×3, first 2 shown]
	v_fma_f64 v[20:21], s[14:15], v[0:1], v[6:7]
	v_fmac_f64_e32 v[6:7], s[36:37], v[0:1]
	v_add_f64 v[128:129], v[4:5], v[56:57]
	v_mul_f64 v[4:5], v[30:31], s[16:17]
	v_add_f64 v[62:63], v[62:63], v[74:75]
	v_add_f64 v[126:127], v[6:7], v[52:53]
	v_fma_f64 v[6:7], s[30:31], v[0:1], v[4:5]
	v_fmac_f64_e32 v[4:5], s[18:19], v[0:1]
	v_add_f64 v[22:23], v[254:255], -v[140:141]
	v_add_f64 v[54:55], v[54:55], v[62:63]
	v_add_f64 v[10:11], v[10:11], v[32:33]
	v_fma_f64 v[2:3], v[28:29], s[16:17], -v[2:3]
	v_add_f64 v[134:135], v[4:5], v[16:17]
	v_add_f64 v[16:17], v[252:253], v[138:139]
	v_add_f64 v[32:33], v[252:253], -v[138:139]
	v_mul_f64 v[60:61], v[22:23], s[18:19]
	v_add_f64 v[34:35], v[242:243], -v[144:145]
	v_add_f64 v[78:79], v[78:79], v[86:87]
	v_add_f64 v[122:123], v[20:21], v[54:55]
	;; [unrolled: 1-line block ×4, first 2 shown]
	v_fma_f64 v[0:1], s[16:17], v[16:17], v[60:61]
	v_mul_f64 v[62:63], v[32:33], s[18:19]
	v_add_f64 v[20:21], v[240:241], v[142:143]
	v_add_f64 v[40:41], v[240:241], -v[142:143]
	v_mul_f64 v[44:45], v[34:35], s[34:35]
	v_add_f64 v[70:71], v[70:71], v[78:79]
	v_add_f64 v[0:1], v[244:245], v[0:1]
	v_fma_f64 v[2:3], v[18:19], s[16:17], -v[62:63]
	v_mul_f64 v[46:47], v[22:23], s[22:23]
	v_add_f64 v[28:29], v[242:243], v[144:145]
	v_fma_f64 v[30:31], s[24:25], v[20:21], v[44:45]
	v_mul_f64 v[72:73], v[40:41], s[34:35]
	v_add_f64 v[58:59], v[58:59], v[70:71]
	v_add_f64 v[2:3], v[246:247], v[2:3]
	v_fma_f64 v[4:5], s[20:21], v[16:17], v[46:47]
	v_mul_f64 v[76:77], v[32:33], s[22:23]
	v_add_f64 v[0:1], v[30:31], v[0:1]
	v_fma_f64 v[30:31], v[28:29], s[24:25], -v[72:73]
	v_mul_f64 v[78:79], v[34:35], s[30:31]
	v_add_f64 v[130:131], v[6:7], v[58:59]
	v_add_f64 v[4:5], v[244:245], v[4:5]
	v_fma_f64 v[6:7], v[18:19], s[20:21], -v[76:77]
	v_add_f64 v[2:3], v[30:31], v[2:3]
	v_fma_f64 v[30:31], s[16:17], v[20:21], v[78:79]
	v_mul_f64 v[84:85], v[40:41], s[30:31]
	v_add_f64 v[6:7], v[246:247], v[6:7]
	v_add_f64 v[4:5], v[30:31], v[4:5]
	v_fma_f64 v[30:31], v[28:29], s[16:17], -v[84:85]
	v_add_f64 v[42:43], v[250:251], -v[148:149]
	v_add_f64 v[6:7], v[30:31], v[6:7]
	v_add_f64 v[30:31], v[248:249], v[146:147]
	v_add_f64 v[48:49], v[248:249], -v[146:147]
	v_mul_f64 v[74:75], v[42:43], s[36:37]
	v_add_f64 v[36:37], v[250:251], v[148:149]
	v_fma_f64 v[38:39], s[12:13], v[30:31], v[74:75]
	v_mul_f64 v[80:81], v[48:49], s[36:37]
	v_add_f64 v[0:1], v[38:39], v[0:1]
	v_fma_f64 v[38:39], v[36:37], s[12:13], -v[80:81]
	v_mul_f64 v[86:87], v[42:43], s[8:9]
	v_add_f64 v[2:3], v[38:39], v[2:3]
	v_fma_f64 v[38:39], s[2:3], v[30:31], v[86:87]
	v_mul_f64 v[92:93], v[48:49], s[8:9]
	v_add_f64 v[4:5], v[38:39], v[4:5]
	v_fma_f64 v[38:39], v[36:37], s[2:3], -v[92:93]
	v_add_f64 v[52:53], v[206:207], -v[152:153]
	v_add_f64 v[6:7], v[38:39], v[6:7]
	v_add_f64 v[38:39], v[204:205], v[150:151]
	v_add_f64 v[54:55], v[204:205], -v[150:151]
	v_mul_f64 v[82:83], v[52:53], s[8:9]
	v_add_f64 v[68:69], v[206:207], v[152:153]
	v_fma_f64 v[50:51], s[2:3], v[38:39], v[82:83]
	v_mul_f64 v[88:89], v[54:55], s[8:9]
	v_add_f64 v[0:1], v[50:51], v[0:1]
	v_fma_f64 v[50:51], v[68:69], s[2:3], -v[88:89]
	v_mul_f64 v[94:95], v[52:53], s[28:29]
	v_add_f64 v[56:57], v[174:175], -v[178:179]
	v_add_f64 v[2:3], v[50:51], v[2:3]
	v_fma_f64 v[50:51], s[24:25], v[38:39], v[94:95]
	v_mul_f64 v[98:99], v[54:55], s[28:29]
	v_add_f64 v[70:71], v[172:173], v[176:177]
	v_mul_f64 v[90:91], v[56:57], s[22:23]
	v_add_f64 v[4:5], v[50:51], v[4:5]
	v_fma_f64 v[50:51], v[68:69], s[24:25], -v[98:99]
	v_add_f64 v[58:59], v[172:173], -v[176:177]
	v_fma_f64 v[96:97], s[20:21], v[70:71], v[90:91]
	v_add_f64 v[6:7], v[50:51], v[6:7]
	v_add_f64 v[50:51], v[174:175], v[178:179]
	;; [unrolled: 1-line block ×3, first 2 shown]
	v_mul_f64 v[96:97], v[58:59], s[22:23]
	v_fma_f64 v[100:101], v[50:51], s[20:21], -v[96:97]
	v_add_f64 v[2:3], v[100:101], v[2:3]
	v_mul_f64 v[100:101], v[56:57], s[36:37]
	v_fma_f64 v[102:103], s[12:13], v[70:71], v[100:101]
	v_add_f64 v[4:5], v[102:103], v[4:5]
	v_mul_f64 v[102:103], v[58:59], s[36:37]
	v_fma_f64 v[136:137], v[50:51], s[12:13], -v[102:103]
	v_add_f64 v[6:7], v[136:137], v[6:7]
	s_barrier
	ds_write_b128 v65, v[24:27]
	ds_write_b128 v65, v[8:11] offset:16
	ds_write_b128 v65, v[104:107] offset:32
	;; [unrolled: 1-line block ×10, first 2 shown]
	s_and_saveexec_b64 s[38:39], vcc
	s_cbranch_execz .LBB0_17
; %bb.16:
	v_accvgpr_write_b32 a64, v180
	v_accvgpr_write_b32 a65, v181
	;; [unrolled: 1-line block ×6, first 2 shown]
	v_mov_b64_e32 v[184:185], v[178:179]
	v_accvgpr_write_b32 a60, v168
	v_mov_b64_e32 v[182:183], v[176:177]
	v_mov_b64_e32 v[180:181], v[174:175]
	v_accvgpr_write_b32 a61, v169
	v_accvgpr_write_b32 a62, v170
	;; [unrolled: 1-line block ×3, first 2 shown]
	v_mov_b64_e32 v[178:179], v[172:173]
	v_mov_b64_e32 v[172:173], v[148:149]
	v_mul_f64 v[26:27], v[18:19], s[20:21]
	v_accvgpr_write_b32 a52, v160
	v_accvgpr_write_b32 a56, v164
	v_mov_b64_e32 v[170:171], v[146:147]
	v_mul_f64 v[146:147], v[32:33], s[28:29]
	v_mul_f64 v[24:25], v[16:17], s[20:21]
	;; [unrolled: 1-line block ×3, first 2 shown]
	v_accvgpr_write_b32 a53, v161
	v_accvgpr_write_b32 a54, v162
	;; [unrolled: 1-line block ×6, first 2 shown]
	v_mov_b64_e32 v[164:165], v[140:141]
	v_mov_b64_e32 v[168:169], v[144:145]
	v_mul_f64 v[66:67], v[40:41], s[26:27]
	v_fma_f64 v[148:149], s[24:25], v[18:19], v[146:147]
	v_fma_f64 v[146:147], v[18:19], s[24:25], -v[146:147]
	v_add_f64 v[26:27], v[76:77], v[26:27]
	v_mul_f64 v[112:113], v[20:21], s[16:17]
	v_mul_f64 v[122:123], v[36:37], s[2:3]
	v_mov_b64_e32 v[162:163], v[138:139]
	v_mul_f64 v[140:141], v[48:49], s[22:23]
	v_mov_b64_e32 v[166:167], v[142:143]
	v_fma_f64 v[144:145], s[2:3], v[28:29], v[66:67]
	v_fma_f64 v[66:67], v[28:29], s[2:3], -v[66:67]
	v_add_f64 v[146:147], v[246:247], v[146:147]
	v_add_f64 v[84:85], v[84:85], v[114:115]
	v_add_f64 v[26:27], v[246:247], v[26:27]
	v_add_f64 v[24:25], v[24:25], -v[46:47]
	v_mul_f64 v[106:107], v[18:19], s[16:17]
	v_mul_f64 v[120:121], v[30:31], s[2:3]
	;; [unrolled: 1-line block ×4, first 2 shown]
	v_fma_f64 v[142:143], s[20:21], v[36:37], v[140:141]
	v_fma_f64 v[140:141], v[36:37], s[20:21], -v[140:141]
	v_add_f64 v[66:67], v[66:67], v[146:147]
	v_add_f64 v[92:93], v[92:93], v[122:123]
	;; [unrolled: 1-line block ×3, first 2 shown]
	v_add_f64 v[78:79], v[112:113], -v[78:79]
	v_add_f64 v[24:25], v[244:245], v[24:25]
	v_mul_f64 v[110:111], v[28:29], s[24:25]
	v_mul_f64 v[128:129], v[38:39], s[24:25]
	;; [unrolled: 1-line block ×3, first 2 shown]
	v_fma_f64 v[10:11], s[12:13], v[68:69], v[14:15]
	v_fma_f64 v[14:15], v[68:69], s[12:13], -v[14:15]
	v_add_f64 v[66:67], v[140:141], v[66:67]
	v_add_f64 v[98:99], v[98:99], v[130:131]
	;; [unrolled: 1-line block ×3, first 2 shown]
	v_add_f64 v[84:85], v[120:121], -v[86:87]
	v_add_f64 v[24:25], v[78:79], v[24:25]
	v_add_f64 v[62:63], v[62:63], v[106:107]
	v_mul_f64 v[118:119], v[36:37], s[12:13]
	v_mul_f64 v[136:137], v[70:71], s[12:13]
	v_add_f64 v[14:15], v[14:15], v[66:67]
	v_add_f64 v[66:67], v[102:103], v[138:139]
	;; [unrolled: 1-line block ×3, first 2 shown]
	v_add_f64 v[76:77], v[128:129], -v[94:95]
	v_add_f64 v[24:25], v[84:85], v[24:25]
	v_add_f64 v[72:73], v[72:73], v[110:111]
	;; [unrolled: 1-line block ×3, first 2 shown]
	v_mul_f64 v[104:105], v[16:17], s[16:17]
	v_mul_f64 v[126:127], v[68:69], s[2:3]
	v_add_f64 v[26:27], v[66:67], v[26:27]
	v_add_f64 v[66:67], v[136:137], -v[100:101]
	v_add_f64 v[24:25], v[76:77], v[24:25]
	v_add_f64 v[76:77], v[80:81], v[118:119]
	;; [unrolled: 1-line block ×3, first 2 shown]
	v_mul_f64 v[108:109], v[20:21], s[24:25]
	v_mul_f64 v[124:125], v[38:39], s[2:3]
	v_add_f64 v[24:25], v[66:67], v[24:25]
	v_add_f64 v[66:67], v[88:89], v[126:127]
	;; [unrolled: 1-line block ×3, first 2 shown]
	v_add_f64 v[60:61], v[104:105], -v[60:61]
	v_mul_f64 v[116:117], v[30:31], s[12:13]
	v_add_f64 v[62:63], v[66:67], v[62:63]
	v_add_f64 v[66:67], v[124:125], -v[82:83]
	v_add_f64 v[44:45], v[108:109], -v[44:45]
	v_add_f64 v[60:61], v[244:245], v[60:61]
	v_mul_f64 v[82:83], v[32:33], s[14:15]
	v_mul_f64 v[134:135], v[50:51], s[20:21]
	v_add_f64 v[72:73], v[116:117], -v[74:75]
	v_add_f64 v[44:45], v[44:45], v[60:61]
	v_mul_f64 v[78:79], v[40:41], s[22:23]
	v_fma_f64 v[84:85], s[12:13], v[18:19], v[82:83]
	v_fma_f64 v[82:83], v[18:19], s[12:13], -v[82:83]
	v_mul_f64 v[132:133], v[70:71], s[20:21]
	v_add_f64 v[46:47], v[96:97], v[134:135]
	v_add_f64 v[44:45], v[72:73], v[44:45]
	v_mul_f64 v[74:75], v[48:49], s[34:35]
	v_fma_f64 v[80:81], s[20:21], v[28:29], v[78:79]
	v_fma_f64 v[78:79], v[28:29], s[20:21], -v[78:79]
	v_add_f64 v[82:83], v[246:247], v[82:83]
	v_add_f64 v[46:47], v[46:47], v[62:63]
	v_add_f64 v[62:63], v[132:133], -v[90:91]
	v_add_f64 v[44:45], v[66:67], v[44:45]
	v_mul_f64 v[72:73], v[54:55], s[30:31]
	v_fma_f64 v[76:77], s[24:25], v[36:37], v[74:75]
	v_fma_f64 v[74:75], v[36:37], s[24:25], -v[74:75]
	v_add_f64 v[78:79], v[78:79], v[82:83]
	v_add_f64 v[44:45], v[62:63], v[44:45]
	v_mul_f64 v[66:67], v[58:59], s[26:27]
	v_fma_f64 v[62:63], s[16:17], v[68:69], v[72:73]
	v_mul_f64 v[94:95], v[22:23], s[14:15]
	v_fma_f64 v[72:73], v[68:69], s[16:17], -v[72:73]
	v_add_f64 v[74:75], v[74:75], v[78:79]
	v_fma_f64 v[60:61], s[2:3], v[50:51], v[66:67]
	v_add_f64 v[84:85], v[246:247], v[84:85]
	v_mul_f64 v[90:91], v[34:35], s[22:23]
	v_fma_f64 v[96:97], v[16:17], s[12:13], -v[94:95]
	v_fma_f64 v[66:67], v[50:51], s[2:3], -v[66:67]
	v_add_f64 v[72:73], v[72:73], v[74:75]
	v_fmac_f64_e32 v[94:95], s[12:13], v[16:17]
	v_add_f64 v[80:81], v[80:81], v[84:85]
	v_mul_f64 v[86:87], v[42:43], s[34:35]
	v_fma_f64 v[92:93], v[20:21], s[20:21], -v[90:91]
	v_add_f64 v[74:75], v[66:67], v[72:73]
	v_fmac_f64_e32 v[90:91], s[20:21], v[20:21]
	v_add_f64 v[66:67], v[244:245], v[94:95]
	v_add_f64 v[76:77], v[76:77], v[80:81]
	v_mul_f64 v[80:81], v[52:53], s[30:31]
	v_fma_f64 v[88:89], v[30:31], s[24:25], -v[86:87]
	v_fmac_f64_e32 v[86:87], s[24:25], v[30:31]
	v_add_f64 v[66:67], v[90:91], v[66:67]
	v_mul_f64 v[32:33], v[32:33], s[8:9]
	v_fma_f64 v[84:85], v[38:39], s[16:17], -v[80:81]
	v_fmac_f64_e32 v[80:81], s[16:17], v[38:39]
	v_add_f64 v[66:67], v[86:87], v[66:67]
	v_mul_f64 v[40:41], v[40:41], s[14:15]
	v_fma_f64 v[82:83], s[2:3], v[18:19], v[32:33]
	v_mov_b32_e32 v65, v154
	v_accvgpr_write_b32 a3, v155
	v_mul_f64 v[154:155], v[34:35], s[26:27]
	v_accvgpr_write_b32 a48, v156
	v_add_f64 v[66:67], v[80:81], v[66:67]
	v_fma_f64 v[80:81], s[12:13], v[28:29], v[40:41]
	v_add_f64 v[82:83], v[246:247], v[82:83]
	v_mul_f64 v[34:35], v[34:35], s[14:15]
	v_accvgpr_write_b32 a49, v157
	v_accvgpr_write_b32 a50, v158
	v_accvgpr_write_b32 a51, v159
	v_fma_f64 v[156:157], v[20:21], s[2:3], -v[154:155]
	v_fmac_f64_e32 v[154:155], s[2:3], v[20:21]
	v_add_f64 v[80:81], v[80:81], v[82:83]
	v_fma_f64 v[82:83], v[20:21], s[12:13], -v[34:35]
	v_fmac_f64_e32 v[34:35], s[12:13], v[20:21]
	v_add_f64 v[20:21], v[246:247], v[254:255]
	v_add_f64 v[20:21], v[20:21], v[242:243]
	;; [unrolled: 1-line block ×6, first 2 shown]
	v_mov_b64_e32 v[176:177], v[152:153]
	v_add_f64 v[92:93], v[92:93], v[96:97]
	v_add_f64 v[20:21], v[20:21], v[184:185]
	;; [unrolled: 1-line block ×3, first 2 shown]
	v_mul_f64 v[76:77], v[56:57], s[26:27]
	v_add_f64 v[88:89], v[88:89], v[92:93]
	v_add_f64 v[20:21], v[20:21], v[176:177]
	v_mul_f64 v[158:159], v[22:23], s[28:29]
	v_add_f64 v[62:63], v[60:61], v[62:63]
	v_fma_f64 v[60:61], v[70:71], s[2:3], -v[76:77]
	v_add_f64 v[84:85], v[84:85], v[88:89]
	v_mul_f64 v[22:23], v[22:23], s[8:9]
	v_add_f64 v[20:21], v[20:21], v[172:173]
	v_add_f64 v[60:61], v[60:61], v[84:85]
	v_fma_f64 v[84:85], v[16:17], s[2:3], -v[22:23]
	v_fmac_f64_e32 v[22:23], s[2:3], v[16:17]
	v_add_f64 v[20:21], v[20:21], v[168:169]
	v_fma_f64 v[160:161], v[16:17], s[24:25], -v[158:159]
	v_fmac_f64_e32 v[158:159], s[24:25], v[16:17]
	v_add_f64 v[16:17], v[244:245], v[22:23]
	v_add_f64 v[22:23], v[20:21], v[164:165]
	v_add_f64 v[20:21], v[244:245], v[252:253]
	v_add_f64 v[20:21], v[20:21], v[240:241]
	v_add_f64 v[20:21], v[20:21], v[248:249]
	v_add_f64 v[20:21], v[20:21], v[204:205]
	v_add_f64 v[20:21], v[20:21], v[178:179]
	v_mul_f64 v[12:13], v[58:59], s[18:19]
	v_mov_b64_e32 v[174:175], v[150:151]
	v_fmac_f64_e32 v[76:77], s[2:3], v[70:71]
	v_mul_f64 v[48:49], v[48:49], s[18:19]
	v_add_f64 v[20:21], v[20:21], v[182:183]
	v_fma_f64 v[8:9], s[16:17], v[50:51], v[12:13]
	v_add_f64 v[148:149], v[246:247], v[148:149]
	v_fma_f64 v[12:13], v[50:51], s[16:17], -v[12:13]
	v_add_f64 v[72:73], v[76:77], v[66:67]
	v_mul_f64 v[76:77], v[54:55], s[22:23]
	v_fma_f64 v[78:79], s[16:17], v[36:37], v[48:49]
	v_fma_f64 v[18:19], v[18:19], s[2:3], -v[32:33]
	v_add_f64 v[20:21], v[20:21], v[174:175]
	v_add_f64 v[144:145], v[144:145], v[148:149]
	v_mul_f64 v[150:151], v[42:43], s[22:23]
	v_add_f64 v[160:161], v[244:245], v[160:161]
	v_add_f64 v[14:15], v[12:13], v[14:15]
	;; [unrolled: 1-line block ×3, first 2 shown]
	v_fma_f64 v[54:55], s[20:21], v[68:69], v[76:77]
	v_add_f64 v[78:79], v[78:79], v[80:81]
	v_mul_f64 v[42:43], v[42:43], s[18:19]
	v_add_f64 v[84:85], v[244:245], v[84:85]
	v_fma_f64 v[28:29], v[28:29], s[12:13], -v[40:41]
	v_add_f64 v[18:19], v[246:247], v[18:19]
	v_add_f64 v[20:21], v[20:21], v[170:171]
	;; [unrolled: 1-line block ×3, first 2 shown]
	v_mul_f64 v[144:145], v[52:53], s[36:37]
	v_fma_f64 v[152:153], v[30:31], s[20:21], -v[150:151]
	v_add_f64 v[156:157], v[156:157], v[160:161]
	v_fmac_f64_e32 v[150:151], s[20:21], v[30:31]
	v_add_f64 v[12:13], v[154:155], v[12:13]
	v_mul_f64 v[58:59], v[58:59], s[28:29]
	v_add_f64 v[54:55], v[54:55], v[78:79]
	v_mul_f64 v[78:79], v[52:53], s[22:23]
	v_fma_f64 v[80:81], v[30:31], s[16:17], -v[42:43]
	v_add_f64 v[82:83], v[82:83], v[84:85]
	v_fma_f64 v[36:37], v[36:37], s[16:17], -v[48:49]
	v_add_f64 v[18:19], v[28:29], v[18:19]
	v_fmac_f64_e32 v[42:43], s[16:17], v[30:31]
	v_add_f64 v[16:17], v[34:35], v[16:17]
	v_add_f64 v[20:21], v[20:21], v[166:167]
	v_add_f64 v[10:11], v[10:11], v[142:143]
	v_mul_f64 v[142:143], v[56:57], s[18:19]
	v_fma_f64 v[148:149], v[38:39], s[12:13], -v[144:145]
	v_add_f64 v[152:153], v[152:153], v[156:157]
	v_fmac_f64_e32 v[144:145], s[12:13], v[38:39]
	v_accvgpr_read_b32 v159, a51
	v_add_f64 v[12:13], v[150:151], v[12:13]
	v_fma_f64 v[66:67], s[24:25], v[50:51], v[58:59]
	v_mul_f64 v[56:57], v[56:57], s[28:29]
	v_fma_f64 v[52:53], v[38:39], s[20:21], -v[78:79]
	v_add_f64 v[80:81], v[80:81], v[82:83]
	v_fma_f64 v[50:51], v[50:51], s[24:25], -v[58:59]
	v_fma_f64 v[58:59], v[68:69], s[20:21], -v[76:77]
	v_add_f64 v[18:19], v[36:37], v[18:19]
	v_fmac_f64_e32 v[78:79], s[20:21], v[38:39]
	v_add_f64 v[16:17], v[42:43], v[16:17]
	v_accvgpr_read_b32 v183, a67
	v_accvgpr_read_b32 v171, a63
	v_accvgpr_read_b32 v167, a59
	v_add_f64 v[20:21], v[20:21], v[162:163]
	v_accvgpr_read_b32 v163, a55
	v_add_f64 v[10:11], v[8:9], v[10:11]
	v_fma_f64 v[8:9], v[70:71], s[16:17], -v[142:143]
	v_add_f64 v[148:149], v[148:149], v[152:153]
	v_fmac_f64_e32 v[142:143], s[16:17], v[70:71]
	v_accvgpr_read_b32 v158, a50
	v_accvgpr_read_b32 v157, a49
	;; [unrolled: 1-line block ×4, first 2 shown]
	v_mov_b32_e32 v154, v65
	v_add_f64 v[12:13], v[144:145], v[12:13]
	v_add_f64 v[54:55], v[66:67], v[54:55]
	v_fma_f64 v[66:67], v[70:71], s[24:25], -v[56:57]
	v_add_f64 v[52:53], v[52:53], v[80:81]
	v_add_f64 v[18:19], v[58:59], v[18:19]
	v_fmac_f64_e32 v[56:57], s[24:25], v[70:71]
	v_add_f64 v[16:17], v[78:79], v[16:17]
	v_accvgpr_read_b32 v185, a81
	v_accvgpr_read_b32 v184, a80
	v_accvgpr_read_b32 v182, a66
	v_accvgpr_read_b32 v181, a65
	v_accvgpr_read_b32 v180, a64
	v_accvgpr_read_b32 v170, a62
	v_accvgpr_read_b32 v169, a61
	v_accvgpr_read_b32 v168, a60
	v_accvgpr_read_b32 v166, a58
	v_accvgpr_read_b32 v165, a57
	v_accvgpr_read_b32 v164, a56
	v_accvgpr_read_b32 v162, a54
	v_accvgpr_read_b32 v161, a53
	v_accvgpr_read_b32 v160, a52
	v_lshlrev_b32_e32 v28, 4, v187
	v_add_f64 v[8:9], v[8:9], v[148:149]
	v_add_f64 v[12:13], v[142:143], v[12:13]
	;; [unrolled: 1-line block ×5, first 2 shown]
	ds_write_b128 v28, v[20:23]
	ds_write_b128 v28, v[16:19] offset:16
	ds_write_b128 v28, v[72:75] offset:32
	;; [unrolled: 1-line block ×10, first 2 shown]
.LBB0_17:
	s_or_b64 exec, exec, s[38:39]
	s_waitcnt lgkmcnt(0)
	s_barrier
	ds_read_b128 v[32:35], v64
	ds_read_b128 v[28:31], v64 offset:1760
	ds_read_b128 v[56:59], v64 offset:14960
	;; [unrolled: 1-line block ×13, first 2 shown]
	s_and_saveexec_b64 s[2:3], s[0:1]
	s_cbranch_execz .LBB0_19
; %bb.18:
	ds_read_b128 v[0:3], v64 offset:12320
	ds_read_b128 v[4:7], v64 offset:25520
.LBB0_19:
	s_or_b64 exec, exec, s[2:3]
	v_accvgpr_read_b32 v68, a72
	v_accvgpr_read_b32 v70, a74
	;; [unrolled: 1-line block ×4, first 2 shown]
	s_waitcnt lgkmcnt(3)
	v_mul_f64 v[66:67], v[70:71], v[62:63]
	v_fmac_f64_e32 v[66:67], v[68:69], v[60:61]
	v_mul_f64 v[60:61], v[70:71], v[60:61]
	v_fma_f64 v[60:61], v[68:69], v[62:63], -v[60:61]
	v_accvgpr_read_b32 v68, a68
	v_accvgpr_read_b32 v70, a70
	;; [unrolled: 1-line block ×4, first 2 shown]
	v_mul_f64 v[62:63], v[70:71], v[58:59]
	v_fmac_f64_e32 v[62:63], v[68:69], v[56:57]
	v_mul_f64 v[56:57], v[70:71], v[56:57]
	v_fma_f64 v[56:57], v[68:69], v[58:59], -v[56:57]
	v_mul_f64 v[68:69], v[170:171], v[42:43]
	v_fmac_f64_e32 v[68:69], v[168:169], v[40:41]
	v_mul_f64 v[40:41], v[170:171], v[40:41]
	v_fma_f64 v[70:71], v[168:169], v[42:43], -v[40:41]
	s_waitcnt lgkmcnt(1)
	v_mul_f64 v[40:41], v[182:183], v[44:45]
	v_fma_f64 v[74:75], v[180:181], v[46:47], -v[40:41]
	v_accvgpr_read_b32 v40, a76
	v_mul_f64 v[58:59], v[166:167], v[54:55]
	v_accvgpr_read_b32 v42, a78
	v_accvgpr_read_b32 v43, a79
	v_fmac_f64_e32 v[58:59], v[164:165], v[52:53]
	v_mul_f64 v[52:53], v[166:167], v[52:53]
	v_accvgpr_read_b32 v41, a77
	s_waitcnt lgkmcnt(0)
	v_mul_f64 v[76:77], v[42:43], v[38:39]
	v_fma_f64 v[52:53], v[164:165], v[54:55], -v[52:53]
	v_mul_f64 v[54:55], v[162:163], v[50:51]
	v_fmac_f64_e32 v[76:77], v[40:41], v[36:37]
	v_mul_f64 v[36:37], v[42:43], v[36:37]
	v_fmac_f64_e32 v[54:55], v[160:161], v[48:49]
	v_mul_f64 v[48:49], v[162:163], v[48:49]
	v_mul_f64 v[72:73], v[182:183], v[46:47]
	v_fma_f64 v[78:79], v[40:41], v[38:39], -v[36:37]
	v_add_f64 v[36:37], v[32:33], -v[66:67]
	v_add_f64 v[38:39], v[34:35], -v[60:61]
	;; [unrolled: 1-line block ×3, first 2 shown]
	v_fma_f64 v[50:51], v[160:161], v[50:51], -v[48:49]
	v_fmac_f64_e32 v[72:73], v[180:181], v[44:45]
	v_fma_f64 v[32:33], v[32:33], 2.0, -v[36:37]
	v_fma_f64 v[34:35], v[34:35], 2.0, -v[38:39]
	v_add_f64 v[42:43], v[30:31], -v[56:57]
	v_fma_f64 v[28:29], v[28:29], 2.0, -v[40:41]
	v_add_f64 v[44:45], v[24:25], -v[58:59]
	v_add_f64 v[46:47], v[26:27], -v[52:53]
	v_fma_f64 v[30:31], v[30:31], 2.0, -v[42:43]
	v_fma_f64 v[24:25], v[24:25], 2.0, -v[44:45]
	;; [unrolled: 1-line block ×3, first 2 shown]
	v_add_f64 v[48:49], v[20:21], -v[54:55]
	v_add_f64 v[50:51], v[22:23], -v[50:51]
	s_barrier
	ds_write_b128 v184, v[32:35]
	ds_write_b128 v184, v[36:39] offset:176
	ds_write_b128 v185, v[28:31]
	ds_write_b128 v185, v[40:43] offset:176
	v_accvgpr_read_b32 v28, a82
	v_fma_f64 v[20:21], v[20:21], 2.0, -v[48:49]
	v_fma_f64 v[22:23], v[22:23], 2.0, -v[50:51]
	v_add_f64 v[52:53], v[16:17], -v[68:69]
	v_add_f64 v[54:55], v[18:19], -v[70:71]
	ds_write_b128 v28, v[24:27]
	ds_write_b128 v28, v[44:47] offset:176
	v_accvgpr_read_b32 v24, a83
	v_fma_f64 v[16:17], v[16:17], 2.0, -v[52:53]
	v_fma_f64 v[18:19], v[18:19], 2.0, -v[54:55]
	v_add_f64 v[56:57], v[12:13], -v[72:73]
	v_add_f64 v[58:59], v[14:15], -v[74:75]
	ds_write_b128 v24, v[20:23]
	ds_write_b128 v24, v[48:51] offset:176
	v_accvgpr_read_b32 v20, a84
	v_fma_f64 v[12:13], v[12:13], 2.0, -v[56:57]
	v_fma_f64 v[14:15], v[14:15], 2.0, -v[58:59]
	v_add_f64 v[60:61], v[8:9], -v[76:77]
	v_add_f64 v[62:63], v[10:11], -v[78:79]
	ds_write_b128 v20, v[16:19]
	ds_write_b128 v20, v[52:55] offset:176
	v_accvgpr_read_b32 v16, a85
	v_fma_f64 v[8:9], v[8:9], 2.0, -v[60:61]
	v_fma_f64 v[10:11], v[10:11], 2.0, -v[62:63]
	ds_write_b128 v16, v[12:15]
	ds_write_b128 v16, v[56:59] offset:176
	v_accvgpr_read_b32 v12, a86
	ds_write_b128 v12, v[8:11]
	ds_write_b128 v12, v[60:63] offset:176
	s_and_saveexec_b64 s[2:3], s[0:1]
	s_cbranch_execz .LBB0_21
; %bb.20:
	v_mul_f64 v[8:9], v[158:159], v[4:5]
	v_fma_f64 v[8:9], v[156:157], v[6:7], -v[8:9]
	v_mul_f64 v[6:7], v[158:159], v[6:7]
	v_fmac_f64_e32 v[6:7], v[156:157], v[4:5]
	v_add_f64 v[8:9], v[2:3], -v[8:9]
	v_add_f64 v[6:7], v[0:1], -v[6:7]
	v_mad_legacy_u16 v4, v154, 22, v155
	v_fma_f64 v[2:3], v[2:3], 2.0, -v[8:9]
	v_fma_f64 v[0:1], v[0:1], 2.0, -v[6:7]
	v_lshlrev_b32_e32 v4, 4, v4
	ds_write_b128 v4, v[0:3]
	ds_write_b128 v4, v[6:9] offset:176
.LBB0_21:
	s_or_b64 exec, exec, s[2:3]
	v_accvgpr_read_b32 v56, a100
	v_accvgpr_read_b32 v58, a102
	;; [unrolled: 1-line block ×3, first 2 shown]
	s_waitcnt lgkmcnt(0)
	s_barrier
	ds_read_b128 v[20:23], v64 offset:8800
	ds_read_b128 v[0:3], v64
	ds_read_b128 v[4:7], v64 offset:1760
	ds_read_b128 v[24:27], v64 offset:17600
	;; [unrolled: 1-line block ×10, first 2 shown]
	v_accvgpr_read_b32 v57, a101
	s_waitcnt lgkmcnt(11)
	v_mul_f64 v[54:55], v[58:59], v[22:23]
	v_accvgpr_read_b32 v60, a96
	v_accvgpr_read_b32 v66, a116
	v_fmac_f64_e32 v[54:55], v[56:57], v[20:21]
	v_mul_f64 v[20:21], v[58:59], v[20:21]
	v_accvgpr_read_b32 v62, a98
	v_accvgpr_read_b32 v63, a99
	;; [unrolled: 1-line block ×5, first 2 shown]
	v_fma_f64 v[56:57], v[56:57], v[22:23], -v[20:21]
	s_waitcnt lgkmcnt(8)
	v_mul_f64 v[58:59], v[62:63], v[26:27]
	v_mul_f64 v[20:21], v[62:63], v[24:25]
	v_accvgpr_read_b32 v67, a117
	s_waitcnt lgkmcnt(6)
	v_mul_f64 v[62:63], v[68:69], v[40:41]
	v_accvgpr_read_b32 v72, a114
	v_accvgpr_read_b32 v73, a115
	v_fmac_f64_e32 v[62:63], v[66:67], v[38:39]
	v_mul_f64 v[38:39], v[68:69], v[38:39]
	v_accvgpr_read_b32 v71, a113
	v_mul_f64 v[68:69], v[72:73], v[36:37]
	v_accvgpr_read_b32 v74, a92
	v_fmac_f64_e32 v[68:69], v[70:71], v[34:35]
	v_mul_f64 v[34:35], v[72:73], v[34:35]
	v_accvgpr_read_b32 v76, a94
	v_accvgpr_read_b32 v77, a95
	v_fma_f64 v[70:71], v[70:71], v[36:37], -v[34:35]
	v_accvgpr_read_b32 v75, a93
	s_waitcnt lgkmcnt(5)
	v_mul_f64 v[72:73], v[76:77], v[44:45]
	v_mul_f64 v[34:35], v[76:77], v[42:43]
	v_accvgpr_read_b32 v61, a97
	v_fmac_f64_e32 v[72:73], v[74:75], v[42:43]
	v_fma_f64 v[74:75], v[74:75], v[44:45], -v[34:35]
	v_accvgpr_read_b32 v42, a88
	v_fmac_f64_e32 v[58:59], v[60:61], v[24:25]
	v_fma_f64 v[60:61], v[60:61], v[26:27], -v[20:21]
	ds_read_b128 v[20:23], v64 offset:14080
	ds_read_b128 v[24:27], v64 offset:15840
	v_accvgpr_read_b32 v44, a90
	v_accvgpr_read_b32 v45, a91
	;; [unrolled: 1-line block ×3, first 2 shown]
	s_waitcnt lgkmcnt(4)
	v_mul_f64 v[34:35], v[44:45], v[46:47]
	v_mul_f64 v[76:77], v[44:45], v[48:49]
	v_fma_f64 v[48:49], v[42:43], v[48:49], -v[34:35]
	v_accvgpr_read_b32 v34, a104
	v_accvgpr_read_b32 v36, a106
	;; [unrolled: 1-line block ×4, first 2 shown]
	s_waitcnt lgkmcnt(1)
	v_mul_f64 v[78:79], v[36:37], v[22:23]
	v_fmac_f64_e32 v[78:79], v[34:35], v[20:21]
	v_mul_f64 v[20:21], v[36:37], v[20:21]
	v_fma_f64 v[80:81], v[34:35], v[22:23], -v[20:21]
	v_accvgpr_read_b32 v34, a108
	v_accvgpr_read_b32 v36, a110
	;; [unrolled: 1-line block ×4, first 2 shown]
	v_mul_f64 v[82:83], v[36:37], v[52:53]
	v_mul_f64 v[20:21], v[36:37], v[50:51]
	v_fma_f64 v[66:67], v[66:67], v[40:41], -v[38:39]
	ds_read_b128 v[38:41], v64 offset:24640
	v_fmac_f64_e32 v[82:83], v[34:35], v[50:51]
	v_fma_f64 v[84:85], v[34:35], v[52:53], -v[20:21]
	v_accvgpr_read_b32 v34, a124
	v_accvgpr_read_b32 v36, a126
	;; [unrolled: 1-line block ×4, first 2 shown]
	s_waitcnt lgkmcnt(1)
	v_mul_f64 v[86:87], v[36:37], v[26:27]
	v_fmac_f64_e32 v[86:87], v[34:35], v[24:25]
	v_mul_f64 v[20:21], v[36:37], v[24:25]
	v_accvgpr_read_b32 v22, a120
	v_accvgpr_read_b32 v100, a2
	;; [unrolled: 1-line block ×4, first 2 shown]
	v_mad_u64_u32 v[30:31], s[0:1], s6, v100, 0
	v_fma_f64 v[88:89], v[34:35], v[26:27], -v[20:21]
	v_accvgpr_read_b32 v23, a121
	s_waitcnt lgkmcnt(0)
	v_mul_f64 v[90:91], v[24:25], v[40:41]
	v_mul_f64 v[20:21], v[24:25], v[38:39]
	v_fmac_f64_e32 v[90:91], v[22:23], v[38:39]
	v_fma_f64 v[92:93], v[22:23], v[40:41], -v[20:21]
	v_add_f64 v[22:23], v[54:55], v[58:59]
	s_mov_b32 s0, 0xe8584caa
	v_add_f64 v[20:21], v[0:1], v[54:55]
	v_fmac_f64_e32 v[0:1], -0.5, v[22:23]
	v_add_f64 v[22:23], v[56:57], -v[60:61]
	s_mov_b32 s1, 0xbfebb67a
	s_mov_b32 s3, 0x3febb67a
	;; [unrolled: 1-line block ×3, first 2 shown]
	v_add_f64 v[26:27], v[56:57], v[60:61]
	v_fma_f64 v[24:25], s[0:1], v[22:23], v[0:1]
	v_fmac_f64_e32 v[0:1], s[2:3], v[22:23]
	v_add_f64 v[22:23], v[2:3], v[56:57]
	v_fmac_f64_e32 v[2:3], -0.5, v[26:27]
	v_add_f64 v[34:35], v[54:55], -v[58:59]
	v_add_f64 v[36:37], v[62:63], v[68:69]
	v_fmac_f64_e32 v[76:77], v[42:43], v[46:47]
	v_fma_f64 v[26:27], s[2:3], v[34:35], v[2:3]
	v_fmac_f64_e32 v[2:3], s[0:1], v[34:35]
	v_add_f64 v[34:35], v[4:5], v[62:63]
	v_fmac_f64_e32 v[4:5], -0.5, v[36:37]
	v_add_f64 v[36:37], v[66:67], -v[70:71]
	v_add_f64 v[40:41], v[66:67], v[70:71]
	v_fma_f64 v[38:39], s[0:1], v[36:37], v[4:5]
	v_fmac_f64_e32 v[4:5], s[2:3], v[36:37]
	v_add_f64 v[36:37], v[6:7], v[66:67]
	v_fmac_f64_e32 v[6:7], -0.5, v[40:41]
	v_add_f64 v[42:43], v[62:63], -v[68:69]
	v_add_f64 v[44:45], v[72:73], v[76:77]
	v_fma_f64 v[40:41], s[2:3], v[42:43], v[6:7]
	v_fmac_f64_e32 v[6:7], s[0:1], v[42:43]
	v_add_f64 v[42:43], v[8:9], v[72:73]
	v_fmac_f64_e32 v[8:9], -0.5, v[44:45]
	v_add_f64 v[44:45], v[74:75], -v[48:49]
	v_fma_f64 v[46:47], s[0:1], v[44:45], v[8:9]
	v_fmac_f64_e32 v[8:9], s[2:3], v[44:45]
	v_add_f64 v[44:45], v[10:11], v[74:75]
	v_add_f64 v[44:45], v[44:45], v[48:49]
	;; [unrolled: 1-line block ×3, first 2 shown]
	v_fmac_f64_e32 v[10:11], -0.5, v[48:49]
	v_add_f64 v[50:51], v[72:73], -v[76:77]
	v_add_f64 v[52:53], v[78:79], v[82:83]
	v_mov_b32_e32 v32, v31
	v_add_f64 v[20:21], v[20:21], v[58:59]
	v_add_f64 v[22:23], v[22:23], v[60:61]
	v_fma_f64 v[48:49], s[2:3], v[50:51], v[10:11]
	v_fmac_f64_e32 v[10:11], s[0:1], v[50:51]
	v_add_f64 v[50:51], v[12:13], v[78:79]
	v_fmac_f64_e32 v[12:13], -0.5, v[52:53]
	v_add_f64 v[52:53], v[80:81], -v[84:85]
	v_add_f64 v[56:57], v[80:81], v[84:85]
	v_accvgpr_read_b32 v31, a87
	v_add_f64 v[34:35], v[34:35], v[68:69]
	v_add_f64 v[36:37], v[36:37], v[70:71]
	v_fma_f64 v[54:55], s[0:1], v[52:53], v[12:13]
	v_fmac_f64_e32 v[12:13], s[2:3], v[52:53]
	v_add_f64 v[52:53], v[14:15], v[80:81]
	v_fmac_f64_e32 v[14:15], -0.5, v[56:57]
	v_add_f64 v[58:59], v[78:79], -v[82:83]
	v_add_f64 v[60:61], v[86:87], v[90:91]
	s_barrier
	ds_write_b128 v31, v[20:23]
	ds_write_b128 v31, v[24:27] offset:352
	ds_write_b128 v31, v[0:3] offset:704
	v_accvgpr_read_b32 v0, a128
	v_add_f64 v[42:43], v[42:43], v[76:77]
	v_fma_f64 v[56:57], s[2:3], v[58:59], v[14:15]
	v_fmac_f64_e32 v[14:15], s[0:1], v[58:59]
	v_add_f64 v[58:59], v[16:17], v[86:87]
	v_fmac_f64_e32 v[16:17], -0.5, v[60:61]
	v_add_f64 v[60:61], v[88:89], -v[92:93]
	v_add_f64 v[62:63], v[88:89], v[92:93]
	ds_write_b128 v0, v[34:37]
	ds_write_b128 v0, v[38:41] offset:352
	ds_write_b128 v0, v[4:7] offset:704
	v_accvgpr_read_b32 v0, a129
	v_add_f64 v[50:51], v[50:51], v[82:83]
	v_add_f64 v[52:53], v[52:53], v[84:85]
	v_fma_f64 v[68:69], s[0:1], v[60:61], v[16:17]
	v_fmac_f64_e32 v[16:17], s[2:3], v[60:61]
	v_add_f64 v[60:61], v[18:19], v[88:89]
	v_fmac_f64_e32 v[18:19], -0.5, v[62:63]
	v_add_f64 v[62:63], v[86:87], -v[90:91]
	ds_write_b128 v0, v[42:45]
	ds_write_b128 v0, v[46:49] offset:352
	ds_write_b128 v0, v[8:11] offset:704
	v_accvgpr_read_b32 v0, a130
	v_accvgpr_read_b32 v72, a144
	v_add_f64 v[58:59], v[58:59], v[90:91]
	v_add_f64 v[60:61], v[60:61], v[92:93]
	v_fma_f64 v[70:71], s[2:3], v[62:63], v[18:19]
	v_fmac_f64_e32 v[18:19], s[0:1], v[62:63]
	ds_write_b128 v0, v[50:53]
	ds_write_b128 v0, v[54:57] offset:352
	ds_write_b128 v0, v[12:15] offset:704
	v_accvgpr_read_b32 v0, a131
	v_accvgpr_read_b32 v74, a146
	;; [unrolled: 1-line block ×3, first 2 shown]
	ds_write_b128 v0, v[58:61]
	ds_write_b128 v0, v[68:71] offset:352
	ds_write_b128 v0, v[16:19] offset:704
	s_waitcnt lgkmcnt(0)
	s_barrier
	ds_read_b128 v[0:3], v64
	ds_read_b128 v[4:7], v64 offset:1760
	ds_read_b128 v[12:15], v64 offset:10560
	;; [unrolled: 1-line block ×14, first 2 shown]
	v_accvgpr_read_b32 v73, a145
	s_waitcnt lgkmcnt(8)
	v_mul_f64 v[66:67], v[74:75], v[36:37]
	v_fmac_f64_e32 v[66:67], v[72:73], v[34:35]
	v_mul_f64 v[34:35], v[74:75], v[34:35]
	v_fma_f64 v[72:73], v[72:73], v[36:37], -v[34:35]
	v_accvgpr_read_b32 v34, a140
	v_accvgpr_read_b32 v36, a142
	v_accvgpr_read_b32 v37, a143
	v_accvgpr_read_b32 v35, a141
	v_mul_f64 v[74:75], v[36:37], v[14:15]
	v_fmac_f64_e32 v[74:75], v[34:35], v[12:13]
	v_mul_f64 v[12:13], v[36:37], v[12:13]
	v_fma_f64 v[76:77], v[34:35], v[14:15], -v[12:13]
	v_accvgpr_read_b32 v34, a136
	v_accvgpr_read_b32 v36, a138
	;; [unrolled: 1-line block ×4, first 2 shown]
	s_waitcnt lgkmcnt(4)
	v_mul_f64 v[78:79], v[36:37], v[50:51]
	v_mul_f64 v[12:13], v[36:37], v[48:49]
	v_fmac_f64_e32 v[78:79], v[34:35], v[48:49]
	v_fma_f64 v[50:51], v[34:35], v[50:51], -v[12:13]
	v_accvgpr_read_b32 v34, a132
	v_accvgpr_read_b32 v36, a134
	v_accvgpr_read_b32 v37, a135
	v_accvgpr_read_b32 v35, a133
	v_mul_f64 v[80:81], v[36:37], v[22:23]
	v_mul_f64 v[12:13], v[36:37], v[20:21]
	v_fmac_f64_e32 v[80:81], v[34:35], v[20:21]
	v_fma_f64 v[82:83], v[34:35], v[22:23], -v[12:13]
	v_accvgpr_read_b32 v20, a160
	v_accvgpr_read_b32 v22, a162
	v_accvgpr_read_b32 v23, a163
	v_accvgpr_read_b32 v21, a161
	;; [unrolled: 8-line block ×3, first 2 shown]
	v_mul_f64 v[88:89], v[22:23], v[18:19]
	v_fmac_f64_e32 v[88:89], v[20:21], v[16:17]
	v_mul_f64 v[12:13], v[22:23], v[16:17]
	v_accvgpr_read_b32 v14, a152
	v_accvgpr_read_b32 v16, a154
	;; [unrolled: 1-line block ×3, first 2 shown]
	v_fma_f64 v[90:91], v[20:21], v[18:19], -v[12:13]
	v_accvgpr_read_b32 v15, a153
	s_waitcnt lgkmcnt(2)
	v_mul_f64 v[92:93], v[16:17], v[58:59]
	v_mul_f64 v[12:13], v[16:17], v[56:57]
	v_fmac_f64_e32 v[92:93], v[14:15], v[56:57]
	v_fma_f64 v[94:95], v[14:15], v[58:59], -v[12:13]
	v_accvgpr_read_b32 v14, a148
	v_accvgpr_read_b32 v16, a150
	v_accvgpr_read_b32 v17, a151
	v_accvgpr_read_b32 v15, a149
	v_mul_f64 v[96:97], v[16:17], v[26:27]
	v_mul_f64 v[12:13], v[16:17], v[24:25]
	v_fmac_f64_e32 v[96:97], v[14:15], v[24:25]
	v_fma_f64 v[98:99], v[14:15], v[26:27], -v[12:13]
	v_accvgpr_read_b32 v14, a176
	v_accvgpr_read_b32 v16, a178
	v_accvgpr_read_b32 v17, a179
	v_accvgpr_read_b32 v15, a177
	;; [unrolled: 8-line block ×4, first 2 shown]
	s_waitcnt lgkmcnt(1)
	v_mul_f64 v[46:47], v[16:17], v[62:63]
	v_mul_f64 v[12:13], v[16:17], v[60:61]
	v_fmac_f64_e32 v[46:47], v[14:15], v[60:61]
	v_fma_f64 v[38:39], v[14:15], v[62:63], -v[12:13]
	v_accvgpr_read_b32 v14, a164
	v_accvgpr_read_b32 v16, a166
	;; [unrolled: 1-line block ×4, first 2 shown]
	s_waitcnt lgkmcnt(0)
	v_mul_f64 v[12:13], v[16:17], v[68:69]
	v_fma_f64 v[40:41], v[14:15], v[70:71], -v[12:13]
	v_add_f64 v[12:13], v[0:1], v[66:67]
	v_add_f64 v[12:13], v[12:13], v[74:75]
	;; [unrolled: 1-line block ×3, first 2 shown]
	v_mul_f64 v[48:49], v[16:17], v[70:71]
	v_add_f64 v[16:17], v[12:13], v[80:81]
	v_add_f64 v[12:13], v[74:75], v[78:79]
	s_mov_b32 s2, 0x134454ff
	v_mov_b32_e32 v28, s10
	v_mov_b32_e32 v29, s11
	v_fmac_f64_e32 v[48:49], v[14:15], v[68:69]
	v_fma_f64 v[12:13], -0.5, v[12:13], v[0:1]
	v_add_f64 v[14:15], v[72:73], -v[82:83]
	s_mov_b32 s3, 0xbfee6f0e
	s_mov_b32 s0, 0x4755a5e
	s_mov_b32 s11, 0x3fee6f0e
	s_mov_b32 s10, s2
	v_fma_f64 v[20:21], s[2:3], v[14:15], v[12:13]
	v_add_f64 v[18:19], v[76:77], -v[50:51]
	s_mov_b32 s1, 0xbfe2cf23
	v_add_f64 v[22:23], v[66:67], -v[74:75]
	v_add_f64 v[24:25], v[80:81], -v[78:79]
	s_mov_b32 s8, 0x372fe950
	v_fmac_f64_e32 v[12:13], s[10:11], v[14:15]
	s_mov_b32 s13, 0x3fe2cf23
	s_mov_b32 s12, s0
	v_fmac_f64_e32 v[20:21], s[0:1], v[18:19]
	v_add_f64 v[22:23], v[22:23], v[24:25]
	s_mov_b32 s9, 0x3fd3c6ef
	v_fmac_f64_e32 v[12:13], s[12:13], v[18:19]
	v_fmac_f64_e32 v[20:21], s[8:9], v[22:23]
	;; [unrolled: 1-line block ×3, first 2 shown]
	v_add_f64 v[22:23], v[66:67], v[80:81]
	v_fmac_f64_e32 v[0:1], -0.5, v[22:23]
	v_fma_f64 v[24:25], s[10:11], v[18:19], v[0:1]
	v_fmac_f64_e32 v[0:1], s[2:3], v[18:19]
	v_fmac_f64_e32 v[24:25], s[0:1], v[14:15]
	;; [unrolled: 1-line block ×3, first 2 shown]
	v_add_f64 v[14:15], v[2:3], v[72:73]
	v_add_f64 v[14:15], v[14:15], v[76:77]
	;; [unrolled: 1-line block ×3, first 2 shown]
	v_add_f64 v[22:23], v[74:75], -v[66:67]
	v_add_f64 v[26:27], v[78:79], -v[80:81]
	v_add_f64 v[18:19], v[14:15], v[82:83]
	v_add_f64 v[14:15], v[76:77], v[50:51]
	;; [unrolled: 1-line block ×3, first 2 shown]
	v_fma_f64 v[14:15], -0.5, v[14:15], v[2:3]
	v_add_f64 v[52:53], v[66:67], -v[80:81]
	v_fmac_f64_e32 v[24:25], s[8:9], v[22:23]
	v_fmac_f64_e32 v[0:1], s[8:9], v[22:23]
	v_fma_f64 v[22:23], s[10:11], v[52:53], v[14:15]
	v_add_f64 v[54:55], v[74:75], -v[78:79]
	v_add_f64 v[26:27], v[72:73], -v[76:77]
	;; [unrolled: 1-line block ×3, first 2 shown]
	v_fmac_f64_e32 v[14:15], s[2:3], v[52:53]
	v_fmac_f64_e32 v[22:23], s[12:13], v[54:55]
	v_add_f64 v[26:27], v[26:27], v[56:57]
	v_fmac_f64_e32 v[14:15], s[0:1], v[54:55]
	v_fmac_f64_e32 v[22:23], s[8:9], v[26:27]
	;; [unrolled: 1-line block ×3, first 2 shown]
	v_add_f64 v[26:27], v[72:73], v[82:83]
	v_fmac_f64_e32 v[2:3], -0.5, v[26:27]
	v_fma_f64 v[26:27], s[2:3], v[54:55], v[2:3]
	v_fmac_f64_e32 v[2:3], s[10:11], v[54:55]
	v_fmac_f64_e32 v[26:27], s[12:13], v[52:53]
	;; [unrolled: 1-line block ×3, first 2 shown]
	v_add_f64 v[52:53], v[88:89], v[92:93]
	v_add_f64 v[56:57], v[76:77], -v[72:73]
	v_add_f64 v[50:51], v[50:51], -v[82:83]
	v_fma_f64 v[54:55], -0.5, v[52:53], v[4:5]
	v_add_f64 v[52:53], v[86:87], -v[98:99]
	v_add_f64 v[50:51], v[56:57], v[50:51]
	v_fma_f64 v[58:59], s[2:3], v[52:53], v[54:55]
	v_add_f64 v[56:57], v[90:91], -v[94:95]
	v_add_f64 v[60:61], v[84:85], -v[88:89]
	;; [unrolled: 1-line block ×3, first 2 shown]
	v_fmac_f64_e32 v[54:55], s[10:11], v[52:53]
	v_fmac_f64_e32 v[58:59], s[0:1], v[56:57]
	v_add_f64 v[60:61], v[60:61], v[62:63]
	v_fmac_f64_e32 v[54:55], s[12:13], v[56:57]
	v_fmac_f64_e32 v[58:59], s[8:9], v[60:61]
	;; [unrolled: 1-line block ×3, first 2 shown]
	v_add_f64 v[60:61], v[84:85], v[96:97]
	v_fmac_f64_e32 v[26:27], s[8:9], v[50:51]
	v_fmac_f64_e32 v[2:3], s[8:9], v[50:51]
	v_add_f64 v[50:51], v[4:5], v[84:85]
	v_fmac_f64_e32 v[4:5], -0.5, v[60:61]
	v_fma_f64 v[68:69], s[10:11], v[56:57], v[4:5]
	v_add_f64 v[60:61], v[88:89], -v[84:85]
	v_add_f64 v[62:63], v[92:93], -v[96:97]
	v_fmac_f64_e32 v[4:5], s[2:3], v[56:57]
	v_add_f64 v[56:57], v[90:91], v[94:95]
	v_fmac_f64_e32 v[68:69], s[0:1], v[52:53]
	v_add_f64 v[60:61], v[60:61], v[62:63]
	v_fmac_f64_e32 v[4:5], s[12:13], v[52:53]
	v_fma_f64 v[56:57], -0.5, v[56:57], v[6:7]
	v_add_f64 v[62:63], v[84:85], -v[96:97]
	v_fmac_f64_e32 v[68:69], s[8:9], v[60:61]
	v_fmac_f64_e32 v[4:5], s[8:9], v[60:61]
	v_fma_f64 v[60:61], s[10:11], v[62:63], v[56:57]
	v_add_f64 v[66:67], v[88:89], -v[92:93]
	v_add_f64 v[70:71], v[86:87], -v[90:91]
	;; [unrolled: 1-line block ×3, first 2 shown]
	v_fmac_f64_e32 v[56:57], s[2:3], v[62:63]
	v_fmac_f64_e32 v[60:61], s[12:13], v[66:67]
	v_add_f64 v[70:71], v[70:71], v[72:73]
	v_fmac_f64_e32 v[56:57], s[0:1], v[66:67]
	v_fmac_f64_e32 v[60:61], s[8:9], v[70:71]
	;; [unrolled: 1-line block ×3, first 2 shown]
	v_add_f64 v[70:71], v[86:87], v[98:99]
	v_add_f64 v[52:53], v[6:7], v[86:87]
	v_fmac_f64_e32 v[6:7], -0.5, v[70:71]
	v_fma_f64 v[70:71], s[2:3], v[66:67], v[6:7]
	v_fmac_f64_e32 v[6:7], s[10:11], v[66:67]
	v_fmac_f64_e32 v[70:71], s[12:13], v[62:63]
	;; [unrolled: 1-line block ×3, first 2 shown]
	v_add_f64 v[62:63], v[8:9], v[42:43]
	v_add_f64 v[72:73], v[90:91], -v[86:87]
	v_add_f64 v[74:75], v[94:95], -v[98:99]
	v_add_f64 v[62:63], v[62:63], v[44:45]
	v_add_f64 v[72:73], v[72:73], v[74:75]
	;; [unrolled: 1-line block ×3, first 2 shown]
	v_fmac_f64_e32 v[70:71], s[8:9], v[72:73]
	v_fmac_f64_e32 v[6:7], s[8:9], v[72:73]
	v_add_f64 v[72:73], v[62:63], v[48:49]
	v_add_f64 v[62:63], v[44:45], v[46:47]
	v_fma_f64 v[76:77], -0.5, v[62:63], v[8:9]
	v_add_f64 v[62:63], v[34:35], -v[40:41]
	v_fma_f64 v[80:81], s[2:3], v[62:63], v[76:77]
	v_add_f64 v[66:67], v[36:37], -v[38:39]
	v_add_f64 v[74:75], v[42:43], -v[44:45]
	;; [unrolled: 1-line block ×3, first 2 shown]
	v_fmac_f64_e32 v[76:77], s[10:11], v[62:63]
	v_fmac_f64_e32 v[80:81], s[0:1], v[66:67]
	v_add_f64 v[74:75], v[74:75], v[78:79]
	v_fmac_f64_e32 v[76:77], s[12:13], v[66:67]
	v_fmac_f64_e32 v[80:81], s[8:9], v[74:75]
	v_fmac_f64_e32 v[76:77], s[8:9], v[74:75]
	v_add_f64 v[74:75], v[42:43], v[48:49]
	v_fmac_f64_e32 v[8:9], -0.5, v[74:75]
	v_fma_f64 v[84:85], s[10:11], v[66:67], v[8:9]
	v_fmac_f64_e32 v[8:9], s[2:3], v[66:67]
	v_fmac_f64_e32 v[84:85], s[0:1], v[62:63]
	;; [unrolled: 1-line block ×3, first 2 shown]
	v_add_f64 v[62:63], v[10:11], v[34:35]
	v_add_f64 v[74:75], v[44:45], -v[42:43]
	v_add_f64 v[78:79], v[46:47], -v[48:49]
	v_add_f64 v[62:63], v[62:63], v[36:37]
	v_add_f64 v[74:75], v[74:75], v[78:79]
	;; [unrolled: 1-line block ×3, first 2 shown]
	v_fmac_f64_e32 v[84:85], s[8:9], v[74:75]
	v_fmac_f64_e32 v[8:9], s[8:9], v[74:75]
	v_add_f64 v[74:75], v[62:63], v[40:41]
	v_add_f64 v[62:63], v[36:37], v[38:39]
	v_fma_f64 v[78:79], -0.5, v[62:63], v[10:11]
	v_add_f64 v[42:43], v[42:43], -v[48:49]
	v_fma_f64 v[82:83], s[10:11], v[42:43], v[78:79]
	v_add_f64 v[44:45], v[44:45], -v[46:47]
	v_add_f64 v[46:47], v[34:35], -v[36:37]
	;; [unrolled: 1-line block ×3, first 2 shown]
	v_fmac_f64_e32 v[78:79], s[2:3], v[42:43]
	v_fmac_f64_e32 v[82:83], s[12:13], v[44:45]
	v_add_f64 v[46:47], v[46:47], v[48:49]
	v_fmac_f64_e32 v[78:79], s[0:1], v[44:45]
	v_fmac_f64_e32 v[82:83], s[8:9], v[46:47]
	;; [unrolled: 1-line block ×3, first 2 shown]
	v_add_f64 v[46:47], v[34:35], v[40:41]
	v_add_f64 v[50:51], v[50:51], v[88:89]
	;; [unrolled: 1-line block ×3, first 2 shown]
	v_fmac_f64_e32 v[10:11], -0.5, v[46:47]
	v_add_f64 v[50:51], v[50:51], v[92:93]
	v_add_f64 v[52:53], v[52:53], v[94:95]
	v_fma_f64 v[86:87], s[2:3], v[44:45], v[10:11]
	v_add_f64 v[34:35], v[36:37], -v[34:35]
	v_add_f64 v[36:37], v[38:39], -v[40:41]
	v_fmac_f64_e32 v[10:11], s[10:11], v[44:45]
	v_accvgpr_read_b32 v31, a180
	v_add_f64 v[50:51], v[50:51], v[96:97]
	v_add_f64 v[52:53], v[52:53], v[98:99]
	;; [unrolled: 1-line block ×3, first 2 shown]
	v_fmac_f64_e32 v[10:11], s[0:1], v[42:43]
	s_barrier
	ds_write_b128 v31, v[16:19]
	ds_write_b128 v31, v[20:23] offset:1056
	ds_write_b128 v31, v[24:27] offset:2112
	;; [unrolled: 1-line block ×4, first 2 shown]
	v_accvgpr_read_b32 v0, a181
	v_fmac_f64_e32 v[86:87], s[12:13], v[42:43]
	v_fmac_f64_e32 v[10:11], s[8:9], v[34:35]
	ds_write_b128 v0, v[50:53]
	ds_write_b128 v0, v[58:61] offset:1056
	ds_write_b128 v0, v[68:71] offset:2112
	;; [unrolled: 1-line block ×4, first 2 shown]
	v_accvgpr_read_b32 v0, a182
	v_fmac_f64_e32 v[86:87], s[8:9], v[34:35]
	ds_write_b128 v0, v[72:75]
	ds_write_b128 v0, v[80:83] offset:1056
	ds_write_b128 v0, v[84:87] offset:2112
	;; [unrolled: 1-line block ×4, first 2 shown]
	s_waitcnt lgkmcnt(0)
	s_barrier
	ds_read_b128 v[0:3], v64
	ds_read_b128 v[4:7], v64 offset:1760
	ds_read_b128 v[12:15], v64 offset:10560
	;; [unrolled: 1-line block ×14, first 2 shown]
	s_waitcnt lgkmcnt(12)
	v_mul_f64 v[74:75], v[202:203], v[14:15]
	v_fmac_f64_e32 v[74:75], v[200:201], v[12:13]
	v_mul_f64 v[12:13], v[202:203], v[12:13]
	v_fma_f64 v[76:77], v[200:201], v[14:15], -v[12:13]
	s_waitcnt lgkmcnt(4)
	v_mul_f64 v[12:13], v[198:199], v[48:49]
	v_mul_f64 v[78:79], v[198:199], v[50:51]
	v_fma_f64 v[50:51], v[196:197], v[50:51], -v[12:13]
	v_mul_f64 v[12:13], v[194:195], v[20:21]
	v_fma_f64 v[82:83], v[192:193], v[22:23], -v[12:13]
	;; [unrolled: 2-line block ×4, first 2 shown]
	s_waitcnt lgkmcnt(2)
	v_mul_f64 v[12:13], v[218:219], v[56:57]
	v_mul_f64 v[66:67], v[190:191], v[36:37]
	v_fma_f64 v[94:95], v[216:217], v[58:59], -v[12:13]
	v_mul_f64 v[12:13], v[214:215], v[24:25]
	v_fmac_f64_e32 v[66:67], v[188:189], v[34:35]
	v_mul_f64 v[34:35], v[190:191], v[34:35]
	v_fma_f64 v[98:99], v[212:213], v[26:27], -v[12:13]
	v_mul_f64 v[12:13], v[226:227], v[44:45]
	v_fma_f64 v[72:73], v[188:189], v[36:37], -v[34:35]
	v_fma_f64 v[34:35], v[224:225], v[46:47], -v[12:13]
	v_mul_f64 v[12:13], v[238:239], v[52:53]
	v_mul_f64 v[84:85], v[210:211], v[40:41]
	v_fma_f64 v[36:37], v[236:237], v[54:55], -v[12:13]
	s_waitcnt lgkmcnt(1)
	v_mul_f64 v[12:13], v[234:235], v[60:61]
	v_fmac_f64_e32 v[84:85], v[208:209], v[38:39]
	v_fma_f64 v[38:39], v[232:233], v[62:63], -v[12:13]
	s_waitcnt lgkmcnt(0)
	v_mul_f64 v[12:13], v[230:231], v[68:69]
	v_fma_f64 v[40:41], v[228:229], v[70:71], -v[12:13]
	v_add_f64 v[12:13], v[0:1], v[66:67]
	v_fmac_f64_e32 v[78:79], v[196:197], v[48:49]
	v_mul_f64 v[80:81], v[194:195], v[22:23]
	v_add_f64 v[12:13], v[12:13], v[74:75]
	v_fmac_f64_e32 v[80:81], v[192:193], v[20:21]
	v_mul_f64 v[88:89], v[222:223], v[18:19]
	v_add_f64 v[12:13], v[12:13], v[78:79]
	v_fmac_f64_e32 v[88:89], v[220:221], v[16:17]
	v_add_f64 v[16:17], v[12:13], v[80:81]
	v_add_f64 v[12:13], v[74:75], v[78:79]
	v_mul_f64 v[96:97], v[214:215], v[26:27]
	v_fma_f64 v[12:13], -0.5, v[12:13], v[0:1]
	v_add_f64 v[14:15], v[72:73], -v[82:83]
	v_fmac_f64_e32 v[96:97], v[212:213], v[24:25]
	v_fma_f64 v[20:21], s[2:3], v[14:15], v[12:13]
	v_add_f64 v[18:19], v[76:77], -v[50:51]
	v_add_f64 v[22:23], v[66:67], -v[74:75]
	;; [unrolled: 1-line block ×3, first 2 shown]
	v_fmac_f64_e32 v[12:13], s[10:11], v[14:15]
	v_fmac_f64_e32 v[20:21], s[0:1], v[18:19]
	v_add_f64 v[22:23], v[22:23], v[24:25]
	v_fmac_f64_e32 v[12:13], s[12:13], v[18:19]
	v_fmac_f64_e32 v[20:21], s[8:9], v[22:23]
	;; [unrolled: 1-line block ×3, first 2 shown]
	v_add_f64 v[22:23], v[66:67], v[80:81]
	v_fmac_f64_e32 v[0:1], -0.5, v[22:23]
	v_fma_f64 v[24:25], s[10:11], v[18:19], v[0:1]
	v_fmac_f64_e32 v[0:1], s[2:3], v[18:19]
	v_fmac_f64_e32 v[24:25], s[0:1], v[14:15]
	;; [unrolled: 1-line block ×3, first 2 shown]
	v_add_f64 v[14:15], v[2:3], v[72:73]
	v_add_f64 v[14:15], v[14:15], v[76:77]
	v_mul_f64 v[42:43], v[226:227], v[46:47]
	v_add_f64 v[14:15], v[14:15], v[50:51]
	v_fmac_f64_e32 v[42:43], v[224:225], v[44:45]
	v_mul_f64 v[44:45], v[238:239], v[54:55]
	v_add_f64 v[22:23], v[74:75], -v[66:67]
	v_add_f64 v[26:27], v[78:79], -v[80:81]
	v_add_f64 v[18:19], v[14:15], v[82:83]
	v_add_f64 v[14:15], v[76:77], v[50:51]
	v_mul_f64 v[92:93], v[218:219], v[58:59]
	v_fmac_f64_e32 v[44:45], v[236:237], v[52:53]
	v_add_f64 v[22:23], v[22:23], v[26:27]
	v_fma_f64 v[14:15], -0.5, v[14:15], v[2:3]
	v_add_f64 v[52:53], v[66:67], -v[80:81]
	v_fmac_f64_e32 v[92:93], v[216:217], v[56:57]
	v_fmac_f64_e32 v[24:25], s[8:9], v[22:23]
	v_fmac_f64_e32 v[0:1], s[8:9], v[22:23]
	v_fma_f64 v[22:23], s[10:11], v[52:53], v[14:15]
	v_add_f64 v[54:55], v[74:75], -v[78:79]
	v_add_f64 v[26:27], v[72:73], -v[76:77]
	;; [unrolled: 1-line block ×3, first 2 shown]
	v_fmac_f64_e32 v[14:15], s[2:3], v[52:53]
	v_fmac_f64_e32 v[22:23], s[12:13], v[54:55]
	v_add_f64 v[26:27], v[26:27], v[56:57]
	v_fmac_f64_e32 v[14:15], s[0:1], v[54:55]
	v_fmac_f64_e32 v[22:23], s[8:9], v[26:27]
	;; [unrolled: 1-line block ×3, first 2 shown]
	v_add_f64 v[26:27], v[72:73], v[82:83]
	v_fmac_f64_e32 v[2:3], -0.5, v[26:27]
	v_fma_f64 v[26:27], s[2:3], v[54:55], v[2:3]
	v_fmac_f64_e32 v[2:3], s[10:11], v[54:55]
	v_fmac_f64_e32 v[26:27], s[12:13], v[52:53]
	;; [unrolled: 1-line block ×3, first 2 shown]
	v_add_f64 v[52:53], v[88:89], v[92:93]
	v_mul_f64 v[46:47], v[234:235], v[62:63]
	v_add_f64 v[56:57], v[76:77], -v[72:73]
	v_add_f64 v[50:51], v[50:51], -v[82:83]
	v_fma_f64 v[54:55], -0.5, v[52:53], v[4:5]
	v_add_f64 v[52:53], v[86:87], -v[98:99]
	v_fmac_f64_e32 v[46:47], v[232:233], v[60:61]
	v_add_f64 v[50:51], v[56:57], v[50:51]
	v_fma_f64 v[58:59], s[2:3], v[52:53], v[54:55]
	v_add_f64 v[56:57], v[90:91], -v[94:95]
	v_add_f64 v[60:61], v[84:85], -v[88:89]
	;; [unrolled: 1-line block ×3, first 2 shown]
	v_fmac_f64_e32 v[54:55], s[10:11], v[52:53]
	v_fmac_f64_e32 v[58:59], s[0:1], v[56:57]
	v_add_f64 v[60:61], v[60:61], v[62:63]
	v_fmac_f64_e32 v[54:55], s[12:13], v[56:57]
	v_fmac_f64_e32 v[58:59], s[8:9], v[60:61]
	;; [unrolled: 1-line block ×3, first 2 shown]
	v_add_f64 v[60:61], v[84:85], v[96:97]
	v_mul_f64 v[48:49], v[230:231], v[70:71]
	v_fmac_f64_e32 v[26:27], s[8:9], v[50:51]
	v_fmac_f64_e32 v[2:3], s[8:9], v[50:51]
	v_add_f64 v[50:51], v[4:5], v[84:85]
	v_fmac_f64_e32 v[4:5], -0.5, v[60:61]
	v_fmac_f64_e32 v[48:49], v[228:229], v[68:69]
	v_fma_f64 v[68:69], s[10:11], v[56:57], v[4:5]
	v_add_f64 v[60:61], v[88:89], -v[84:85]
	v_add_f64 v[62:63], v[92:93], -v[96:97]
	v_fmac_f64_e32 v[4:5], s[2:3], v[56:57]
	v_add_f64 v[56:57], v[90:91], v[94:95]
	v_fmac_f64_e32 v[68:69], s[0:1], v[52:53]
	v_add_f64 v[60:61], v[60:61], v[62:63]
	v_fmac_f64_e32 v[4:5], s[12:13], v[52:53]
	v_fma_f64 v[56:57], -0.5, v[56:57], v[6:7]
	v_add_f64 v[62:63], v[84:85], -v[96:97]
	v_fmac_f64_e32 v[68:69], s[8:9], v[60:61]
	v_fmac_f64_e32 v[4:5], s[8:9], v[60:61]
	v_fma_f64 v[60:61], s[10:11], v[62:63], v[56:57]
	v_add_f64 v[66:67], v[88:89], -v[92:93]
	v_add_f64 v[70:71], v[86:87], -v[90:91]
	;; [unrolled: 1-line block ×3, first 2 shown]
	v_fmac_f64_e32 v[56:57], s[2:3], v[62:63]
	v_fmac_f64_e32 v[60:61], s[12:13], v[66:67]
	v_add_f64 v[70:71], v[70:71], v[72:73]
	v_fmac_f64_e32 v[56:57], s[0:1], v[66:67]
	v_fmac_f64_e32 v[60:61], s[8:9], v[70:71]
	;; [unrolled: 1-line block ×3, first 2 shown]
	v_add_f64 v[70:71], v[86:87], v[98:99]
	v_add_f64 v[52:53], v[6:7], v[86:87]
	v_fmac_f64_e32 v[6:7], -0.5, v[70:71]
	v_fma_f64 v[70:71], s[2:3], v[66:67], v[6:7]
	v_fmac_f64_e32 v[6:7], s[10:11], v[66:67]
	v_fmac_f64_e32 v[70:71], s[12:13], v[62:63]
	;; [unrolled: 1-line block ×3, first 2 shown]
	v_add_f64 v[62:63], v[8:9], v[42:43]
	v_add_f64 v[72:73], v[90:91], -v[86:87]
	v_add_f64 v[74:75], v[94:95], -v[98:99]
	v_add_f64 v[62:63], v[62:63], v[44:45]
	v_add_f64 v[72:73], v[72:73], v[74:75]
	;; [unrolled: 1-line block ×3, first 2 shown]
	v_fmac_f64_e32 v[70:71], s[8:9], v[72:73]
	v_fmac_f64_e32 v[6:7], s[8:9], v[72:73]
	v_add_f64 v[72:73], v[62:63], v[48:49]
	v_add_f64 v[62:63], v[44:45], v[46:47]
	v_fma_f64 v[76:77], -0.5, v[62:63], v[8:9]
	v_add_f64 v[62:63], v[34:35], -v[40:41]
	v_fma_f64 v[80:81], s[2:3], v[62:63], v[76:77]
	v_add_f64 v[66:67], v[36:37], -v[38:39]
	v_add_f64 v[74:75], v[42:43], -v[44:45]
	;; [unrolled: 1-line block ×3, first 2 shown]
	v_fmac_f64_e32 v[76:77], s[10:11], v[62:63]
	v_fmac_f64_e32 v[80:81], s[0:1], v[66:67]
	v_add_f64 v[74:75], v[74:75], v[78:79]
	v_fmac_f64_e32 v[76:77], s[12:13], v[66:67]
	v_fmac_f64_e32 v[80:81], s[8:9], v[74:75]
	v_fmac_f64_e32 v[76:77], s[8:9], v[74:75]
	v_add_f64 v[74:75], v[42:43], v[48:49]
	v_fmac_f64_e32 v[8:9], -0.5, v[74:75]
	v_fma_f64 v[84:85], s[10:11], v[66:67], v[8:9]
	v_fmac_f64_e32 v[8:9], s[2:3], v[66:67]
	v_fmac_f64_e32 v[84:85], s[0:1], v[62:63]
	;; [unrolled: 1-line block ×3, first 2 shown]
	v_add_f64 v[62:63], v[10:11], v[34:35]
	v_add_f64 v[74:75], v[44:45], -v[42:43]
	v_add_f64 v[78:79], v[46:47], -v[48:49]
	v_add_f64 v[62:63], v[62:63], v[36:37]
	v_add_f64 v[74:75], v[74:75], v[78:79]
	v_add_f64 v[62:63], v[62:63], v[38:39]
	v_fmac_f64_e32 v[84:85], s[8:9], v[74:75]
	v_fmac_f64_e32 v[8:9], s[8:9], v[74:75]
	v_add_f64 v[74:75], v[62:63], v[40:41]
	v_add_f64 v[62:63], v[36:37], v[38:39]
	v_fma_f64 v[78:79], -0.5, v[62:63], v[10:11]
	v_add_f64 v[42:43], v[42:43], -v[48:49]
	v_fma_f64 v[82:83], s[10:11], v[42:43], v[78:79]
	v_add_f64 v[44:45], v[44:45], -v[46:47]
	v_add_f64 v[46:47], v[34:35], -v[36:37]
	;; [unrolled: 1-line block ×3, first 2 shown]
	v_fmac_f64_e32 v[78:79], s[2:3], v[42:43]
	v_fmac_f64_e32 v[82:83], s[12:13], v[44:45]
	v_add_f64 v[46:47], v[46:47], v[48:49]
	v_fmac_f64_e32 v[78:79], s[0:1], v[44:45]
	v_fmac_f64_e32 v[82:83], s[8:9], v[46:47]
	;; [unrolled: 1-line block ×3, first 2 shown]
	v_add_f64 v[46:47], v[34:35], v[40:41]
	v_fmac_f64_e32 v[10:11], -0.5, v[46:47]
	v_add_f64 v[50:51], v[50:51], v[88:89]
	v_add_f64 v[52:53], v[52:53], v[90:91]
	v_fma_f64 v[86:87], s[2:3], v[44:45], v[10:11]
	v_add_f64 v[34:35], v[36:37], -v[34:35]
	v_add_f64 v[36:37], v[38:39], -v[40:41]
	v_fmac_f64_e32 v[10:11], s[10:11], v[44:45]
	v_add_f64 v[50:51], v[50:51], v[92:93]
	v_add_f64 v[52:53], v[52:53], v[94:95]
	v_fmac_f64_e32 v[86:87], s[12:13], v[42:43]
	v_add_f64 v[34:35], v[34:35], v[36:37]
	v_fmac_f64_e32 v[10:11], s[0:1], v[42:43]
	v_add_f64 v[50:51], v[50:51], v[96:97]
	v_add_f64 v[52:53], v[52:53], v[98:99]
	v_fmac_f64_e32 v[86:87], s[8:9], v[34:35]
	v_fmac_f64_e32 v[10:11], s[8:9], v[34:35]
	ds_write_b128 v64, v[16:19]
	ds_write_b128 v64, v[20:23] offset:5280
	ds_write_b128 v64, v[24:27] offset:10560
	;; [unrolled: 1-line block ×14, first 2 shown]
	s_waitcnt lgkmcnt(0)
	s_barrier
	ds_read_b128 v[0:3], v64
	v_accvgpr_read_b32 v10, a32
	v_mad_u64_u32 v[4:5], s[0:1], s7, v100, v[32:33]
	v_accvgpr_read_b32 v12, a34
	v_accvgpr_read_b32 v13, a35
	v_mov_b32_e32 v31, v4
	ds_read_b128 v[4:7], v64 offset:2400
	v_accvgpr_read_b32 v11, a33
	s_waitcnt lgkmcnt(1)
	v_mul_f64 v[8:9], v[12:13], v[2:3]
	v_fmac_f64_e32 v[8:9], v[10:11], v[0:1]
	s_mov_b32 s0, 0x3dc013dc
	v_mul_f64 v[0:1], v[12:13], v[0:1]
	s_mov_b32 s1, 0x3f43dc01
	v_fma_f64 v[0:1], v[10:11], v[2:3], -v[0:1]
	v_mov_b32_e32 v162, v186
	v_mul_f64 v[10:11], v[0:1], s[0:1]
	v_mad_u64_u32 v[0:1], s[2:3], s4, v162, 0
	v_mov_b32_e32 v2, v1
	v_mad_u64_u32 v[2:3], s[2:3], s5, v162, v[2:3]
	v_mov_b32_e32 v1, v2
	v_lshl_add_u64 v[2:3], v[30:31], 4, v[28:29]
	v_mul_f64 v[8:9], v[8:9], s[0:1]
	v_lshl_add_u64 v[12:13], v[0:1], 4, v[2:3]
	global_store_dwordx4 v[12:13], v[8:11], off
	s_mul_i32 s2, s5, 0x96
	s_mul_hi_u32 s3, s4, 0x96
	v_accvgpr_read_b32 v11, a7
	v_accvgpr_read_b32 v10, a6
	;; [unrolled: 1-line block ×4, first 2 shown]
	s_waitcnt lgkmcnt(0)
	v_mul_f64 v[0:1], v[10:11], v[6:7]
	v_mul_f64 v[2:3], v[10:11], v[4:5]
	v_fmac_f64_e32 v[0:1], v[8:9], v[4:5]
	v_fma_f64 v[2:3], v[8:9], v[6:7], -v[2:3]
	ds_read_b128 v[4:7], v64 offset:4800
	s_add_i32 s3, s3, s2
	s_mul_i32 s2, s4, 0x96
	s_lshl_b64 s[2:3], s[2:3], 4
	v_accvgpr_read_b32 v14, a24
	v_mul_f64 v[0:1], v[0:1], s[0:1]
	v_mul_f64 v[2:3], v[2:3], s[0:1]
	v_lshl_add_u64 v[12:13], v[12:13], 0, s[2:3]
	v_accvgpr_read_b32 v16, a26
	v_accvgpr_read_b32 v17, a27
	global_store_dwordx4 v[12:13], v[0:3], off
	ds_read_b128 v[0:3], v64 offset:7200
	v_accvgpr_read_b32 v15, a25
	s_waitcnt lgkmcnt(1)
	v_mul_f64 v[8:9], v[16:17], v[6:7]
	v_fmac_f64_e32 v[8:9], v[14:15], v[4:5]
	v_mul_f64 v[4:5], v[16:17], v[4:5]
	v_fma_f64 v[4:5], v[14:15], v[6:7], -v[4:5]
	v_mul_f64 v[8:9], v[8:9], s[0:1]
	v_mul_f64 v[10:11], v[4:5], s[0:1]
	v_lshl_add_u64 v[12:13], v[12:13], 0, s[2:3]
	global_store_dwordx4 v[12:13], v[8:11], off
	v_accvgpr_read_b32 v6, a12
	v_accvgpr_read_b32 v7, a13
	;; [unrolled: 1-line block ×4, first 2 shown]
	s_waitcnt lgkmcnt(0)
	v_mul_f64 v[4:5], v[8:9], v[2:3]
	v_fmac_f64_e32 v[4:5], v[6:7], v[0:1]
	v_mul_f64 v[0:1], v[8:9], v[0:1]
	v_fma_f64 v[6:7], v[6:7], v[2:3], -v[0:1]
	ds_read_b128 v[0:3], v64 offset:9600
	v_accvgpr_read_b32 v14, a40
	v_mul_f64 v[4:5], v[4:5], s[0:1]
	v_mul_f64 v[6:7], v[6:7], s[0:1]
	v_lshl_add_u64 v[12:13], v[12:13], 0, s[2:3]
	v_accvgpr_read_b32 v16, a42
	v_accvgpr_read_b32 v17, a43
	global_store_dwordx4 v[12:13], v[4:7], off
	ds_read_b128 v[4:7], v64 offset:12000
	v_accvgpr_read_b32 v15, a41
	s_waitcnt lgkmcnt(1)
	v_mul_f64 v[8:9], v[16:17], v[2:3]
	v_fmac_f64_e32 v[8:9], v[14:15], v[0:1]
	v_mul_f64 v[0:1], v[16:17], v[0:1]
	v_fma_f64 v[0:1], v[14:15], v[2:3], -v[0:1]
	v_mul_f64 v[8:9], v[8:9], s[0:1]
	v_mul_f64 v[10:11], v[0:1], s[0:1]
	v_lshl_add_u64 v[12:13], v[12:13], 0, s[2:3]
	global_store_dwordx4 v[12:13], v[8:11], off
	v_accvgpr_read_b32 v17, a11
	v_lshl_add_u64 v[12:13], v[12:13], 0, s[2:3]
	v_accvgpr_read_b32 v8, a16
	v_accvgpr_read_b32 v10, a18
	;; [unrolled: 1-line block ×4, first 2 shown]
	s_waitcnt lgkmcnt(0)
	v_mul_f64 v[0:1], v[10:11], v[6:7]
	v_mul_f64 v[2:3], v[10:11], v[4:5]
	v_fmac_f64_e32 v[0:1], v[8:9], v[4:5]
	v_fma_f64 v[2:3], v[8:9], v[6:7], -v[2:3]
	ds_read_b128 v[4:7], v64 offset:14400
	v_mul_f64 v[0:1], v[0:1], s[0:1]
	v_mul_f64 v[2:3], v[2:3], s[0:1]
	v_accvgpr_read_b32 v16, a10
	global_store_dwordx4 v[12:13], v[0:3], off
	ds_read_b128 v[0:3], v64 offset:16800
	v_accvgpr_read_b32 v15, a9
	v_accvgpr_read_b32 v14, a8
	s_waitcnt lgkmcnt(1)
	v_mul_f64 v[8:9], v[16:17], v[6:7]
	v_fmac_f64_e32 v[8:9], v[14:15], v[4:5]
	v_mul_f64 v[4:5], v[16:17], v[4:5]
	v_fma_f64 v[4:5], v[14:15], v[6:7], -v[4:5]
	v_mul_f64 v[8:9], v[8:9], s[0:1]
	v_mul_f64 v[10:11], v[4:5], s[0:1]
	v_lshl_add_u64 v[12:13], v[12:13], 0, s[2:3]
	global_store_dwordx4 v[12:13], v[8:11], off
	v_accvgpr_read_b32 v6, a44
	v_accvgpr_read_b32 v7, a45
	;; [unrolled: 1-line block ×4, first 2 shown]
	s_waitcnt lgkmcnt(0)
	v_mul_f64 v[4:5], v[8:9], v[2:3]
	v_fmac_f64_e32 v[4:5], v[6:7], v[0:1]
	v_mul_f64 v[0:1], v[8:9], v[0:1]
	v_fma_f64 v[6:7], v[6:7], v[2:3], -v[0:1]
	ds_read_b128 v[0:3], v64 offset:19200
	v_accvgpr_read_b32 v14, a20
	v_mul_f64 v[4:5], v[4:5], s[0:1]
	v_mul_f64 v[6:7], v[6:7], s[0:1]
	v_lshl_add_u64 v[12:13], v[12:13], 0, s[2:3]
	v_accvgpr_read_b32 v16, a22
	v_accvgpr_read_b32 v17, a23
	global_store_dwordx4 v[12:13], v[4:7], off
	ds_read_b128 v[4:7], v64 offset:21600
	v_accvgpr_read_b32 v15, a21
	s_waitcnt lgkmcnt(1)
	v_mul_f64 v[8:9], v[16:17], v[2:3]
	v_fmac_f64_e32 v[8:9], v[14:15], v[0:1]
	v_mul_f64 v[0:1], v[16:17], v[0:1]
	v_fma_f64 v[0:1], v[14:15], v[2:3], -v[0:1]
	v_mul_f64 v[8:9], v[8:9], s[0:1]
	v_mul_f64 v[10:11], v[0:1], s[0:1]
	v_lshl_add_u64 v[12:13], v[12:13], 0, s[2:3]
	global_store_dwordx4 v[12:13], v[8:11], off
	v_accvgpr_read_b32 v14, a28
	ds_read_b128 v[8:11], v64 offset:24000
	v_accvgpr_read_b32 v16, a30
	v_accvgpr_read_b32 v17, a31
	;; [unrolled: 1-line block ×3, first 2 shown]
	s_waitcnt lgkmcnt(1)
	v_mul_f64 v[0:1], v[16:17], v[6:7]
	v_mul_f64 v[2:3], v[16:17], v[4:5]
	v_fmac_f64_e32 v[0:1], v[14:15], v[4:5]
	v_fma_f64 v[2:3], v[14:15], v[6:7], -v[2:3]
	v_lshl_add_u64 v[6:7], v[12:13], 0, s[2:3]
	v_accvgpr_read_b32 v12, a36
	v_mul_f64 v[0:1], v[0:1], s[0:1]
	v_mul_f64 v[2:3], v[2:3], s[0:1]
	v_accvgpr_read_b32 v14, a38
	v_accvgpr_read_b32 v15, a39
	global_store_dwordx4 v[6:7], v[0:3], off
	v_accvgpr_read_b32 v13, a37
	s_waitcnt lgkmcnt(0)
	v_mul_f64 v[0:1], v[14:15], v[10:11]
	v_fmac_f64_e32 v[0:1], v[12:13], v[8:9]
	v_mul_f64 v[2:3], v[0:1], s[0:1]
	v_mul_f64 v[0:1], v[14:15], v[8:9]
	v_fma_f64 v[0:1], v[12:13], v[10:11], -v[0:1]
	v_mul_f64 v[4:5], v[0:1], s[0:1]
	v_lshl_add_u64 v[0:1], v[6:7], 0, s[2:3]
	global_store_dwordx4 v[0:1], v[2:5], off
	s_and_b64 exec, exec, vcc
	s_cbranch_execz .LBB0_23
; %bb.22:
	v_accvgpr_read_b32 v19, a1
	v_accvgpr_read_b32 v18, a0
	global_load_dwordx4 v[2:5], v[18:19], off offset:1760
	ds_read_b128 v[6:9], v64 offset:1760
	ds_read_b128 v[10:13], v64 offset:4160
	v_mov_b32_e32 v14, 0xffffa920
	s_mulk_i32 s5, 0xa920
	v_mad_u64_u32 v[14:15], s[6:7], s4, v14, v[0:1]
	s_movk_i32 s8, 0x1000
	s_sub_i32 s4, s5, s4
	v_add_co_u32_e32 v16, vcc, s8, v18
	v_add_u32_e32 v15, s4, v15
	s_nop 0
	v_addc_co_u32_e32 v17, vcc, 0, v19, vcc
	s_movk_i32 s4, 0x2000
	s_waitcnt vmcnt(0) lgkmcnt(1)
	v_mul_f64 v[0:1], v[8:9], v[4:5]
	v_mul_f64 v[4:5], v[6:7], v[4:5]
	v_fmac_f64_e32 v[0:1], v[6:7], v[2:3]
	v_fma_f64 v[2:3], v[2:3], v[8:9], -v[4:5]
	v_mul_f64 v[0:1], v[0:1], s[0:1]
	v_mul_f64 v[2:3], v[2:3], s[0:1]
	global_store_dwordx4 v[14:15], v[0:3], off
	global_load_dwordx4 v[0:3], v[16:17], off offset:64
	v_lshl_add_u64 v[14:15], v[14:15], 0, s[2:3]
	s_waitcnt vmcnt(0) lgkmcnt(0)
	v_mul_f64 v[4:5], v[12:13], v[2:3]
	v_mul_f64 v[2:3], v[10:11], v[2:3]
	v_fmac_f64_e32 v[4:5], v[10:11], v[0:1]
	v_fma_f64 v[2:3], v[0:1], v[12:13], -v[2:3]
	v_mul_f64 v[0:1], v[4:5], s[0:1]
	v_mul_f64 v[2:3], v[2:3], s[0:1]
	global_store_dwordx4 v[14:15], v[0:3], off
	global_load_dwordx4 v[0:3], v[16:17], off offset:2464
	ds_read_b128 v[4:7], v64 offset:6560
	ds_read_b128 v[8:11], v64 offset:8960
	v_add_co_u32_e32 v12, vcc, s4, v18
	v_lshl_add_u64 v[14:15], v[14:15], 0, s[2:3]
	s_nop 0
	v_addc_co_u32_e32 v13, vcc, 0, v19, vcc
	s_movk_i32 s4, 0x3000
	s_waitcnt vmcnt(0) lgkmcnt(1)
	v_mul_f64 v[16:17], v[6:7], v[2:3]
	v_mul_f64 v[2:3], v[4:5], v[2:3]
	v_fmac_f64_e32 v[16:17], v[4:5], v[0:1]
	v_fma_f64 v[2:3], v[0:1], v[6:7], -v[2:3]
	v_mul_f64 v[0:1], v[16:17], s[0:1]
	v_mul_f64 v[2:3], v[2:3], s[0:1]
	global_store_dwordx4 v[14:15], v[0:3], off
	global_load_dwordx4 v[0:3], v[12:13], off offset:768
	v_lshl_add_u64 v[14:15], v[14:15], 0, s[2:3]
	s_waitcnt vmcnt(0) lgkmcnt(0)
	v_mul_f64 v[4:5], v[10:11], v[2:3]
	v_mul_f64 v[2:3], v[8:9], v[2:3]
	v_fmac_f64_e32 v[4:5], v[8:9], v[0:1]
	v_fma_f64 v[2:3], v[0:1], v[10:11], -v[2:3]
	v_mul_f64 v[0:1], v[4:5], s[0:1]
	v_mul_f64 v[2:3], v[2:3], s[0:1]
	global_store_dwordx4 v[14:15], v[0:3], off
	global_load_dwordx4 v[0:3], v[12:13], off offset:3168
	ds_read_b128 v[4:7], v64 offset:11360
	ds_read_b128 v[8:11], v64 offset:13760
	v_add_co_u32_e32 v12, vcc, s4, v18
	v_lshl_add_u64 v[14:15], v[14:15], 0, s[2:3]
	s_nop 0
	v_addc_co_u32_e32 v13, vcc, 0, v19, vcc
	s_movk_i32 s4, 0x4000
	s_waitcnt vmcnt(0) lgkmcnt(1)
	v_mul_f64 v[16:17], v[6:7], v[2:3]
	v_mul_f64 v[2:3], v[4:5], v[2:3]
	v_fmac_f64_e32 v[16:17], v[4:5], v[0:1]
	v_fma_f64 v[2:3], v[0:1], v[6:7], -v[2:3]
	v_mul_f64 v[0:1], v[16:17], s[0:1]
	v_mul_f64 v[2:3], v[2:3], s[0:1]
	global_store_dwordx4 v[14:15], v[0:3], off
	global_load_dwordx4 v[0:3], v[12:13], off offset:1472
	v_lshl_add_u64 v[14:15], v[14:15], 0, s[2:3]
	s_waitcnt vmcnt(0) lgkmcnt(0)
	v_mul_f64 v[4:5], v[10:11], v[2:3]
	v_mul_f64 v[2:3], v[8:9], v[2:3]
	v_fmac_f64_e32 v[4:5], v[8:9], v[0:1]
	v_fma_f64 v[2:3], v[0:1], v[10:11], -v[2:3]
	v_mul_f64 v[0:1], v[4:5], s[0:1]
	v_mul_f64 v[2:3], v[2:3], s[0:1]
	global_store_dwordx4 v[14:15], v[0:3], off
	global_load_dwordx4 v[0:3], v[12:13], off offset:3872
	ds_read_b128 v[4:7], v64 offset:16160
	ds_read_b128 v[8:11], v64 offset:18560
	v_add_co_u32_e32 v12, vcc, s4, v18
	v_lshl_add_u64 v[14:15], v[14:15], 0, s[2:3]
	s_nop 0
	v_addc_co_u32_e32 v13, vcc, 0, v19, vcc
	s_movk_i32 s4, 0x5000
	s_waitcnt vmcnt(0) lgkmcnt(1)
	v_mul_f64 v[16:17], v[6:7], v[2:3]
	v_mul_f64 v[2:3], v[4:5], v[2:3]
	v_fmac_f64_e32 v[16:17], v[4:5], v[0:1]
	v_fma_f64 v[2:3], v[0:1], v[6:7], -v[2:3]
	v_mul_f64 v[0:1], v[16:17], s[0:1]
	v_mul_f64 v[2:3], v[2:3], s[0:1]
	global_store_dwordx4 v[14:15], v[0:3], off
	global_load_dwordx4 v[0:3], v[12:13], off offset:2176
	v_add_co_u32_e32 v12, vcc, s4, v18
	v_lshl_add_u64 v[14:15], v[14:15], 0, s[2:3]
	s_nop 0
	v_addc_co_u32_e32 v13, vcc, 0, v19, vcc
	s_movk_i32 s4, 0x6000
	s_waitcnt vmcnt(0) lgkmcnt(0)
	v_mul_f64 v[4:5], v[10:11], v[2:3]
	v_mul_f64 v[2:3], v[8:9], v[2:3]
	v_fmac_f64_e32 v[4:5], v[8:9], v[0:1]
	v_fma_f64 v[2:3], v[0:1], v[10:11], -v[2:3]
	v_mul_f64 v[0:1], v[4:5], s[0:1]
	v_mul_f64 v[2:3], v[2:3], s[0:1]
	global_store_dwordx4 v[14:15], v[0:3], off
	global_load_dwordx4 v[0:3], v[12:13], off offset:480
	ds_read_b128 v[4:7], v64 offset:20960
	ds_read_b128 v[8:11], v64 offset:23360
	v_lshl_add_u64 v[14:15], v[14:15], 0, s[2:3]
	s_waitcnt vmcnt(0) lgkmcnt(1)
	v_mul_f64 v[16:17], v[6:7], v[2:3]
	v_mul_f64 v[2:3], v[4:5], v[2:3]
	v_fmac_f64_e32 v[16:17], v[4:5], v[0:1]
	v_fma_f64 v[2:3], v[0:1], v[6:7], -v[2:3]
	v_mul_f64 v[0:1], v[16:17], s[0:1]
	v_mul_f64 v[2:3], v[2:3], s[0:1]
	global_store_dwordx4 v[14:15], v[0:3], off
	global_load_dwordx4 v[0:3], v[12:13], off offset:2880
	v_add_co_u32_e32 v4, vcc, s4, v18
	v_lshl_add_u64 v[12:13], v[14:15], 0, s[2:3]
	s_nop 0
	v_addc_co_u32_e32 v5, vcc, 0, v19, vcc
	s_waitcnt vmcnt(0) lgkmcnt(0)
	v_mul_f64 v[6:7], v[10:11], v[2:3]
	v_mul_f64 v[2:3], v[8:9], v[2:3]
	v_fmac_f64_e32 v[6:7], v[8:9], v[0:1]
	v_fma_f64 v[2:3], v[0:1], v[10:11], -v[2:3]
	v_mul_f64 v[0:1], v[6:7], s[0:1]
	v_mul_f64 v[2:3], v[2:3], s[0:1]
	global_store_dwordx4 v[12:13], v[0:3], off
	global_load_dwordx4 v[0:3], v[4:5], off offset:1184
	ds_read_b128 v[4:7], v64 offset:25760
	s_waitcnt vmcnt(0) lgkmcnt(0)
	v_mul_f64 v[8:9], v[6:7], v[2:3]
	v_mul_f64 v[2:3], v[4:5], v[2:3]
	v_fmac_f64_e32 v[8:9], v[4:5], v[0:1]
	v_fma_f64 v[2:3], v[0:1], v[6:7], -v[2:3]
	v_mul_f64 v[0:1], v[8:9], s[0:1]
	v_mul_f64 v[2:3], v[2:3], s[0:1]
	v_lshl_add_u64 v[4:5], v[12:13], 0, s[2:3]
	global_store_dwordx4 v[4:5], v[0:3], off
.LBB0_23:
	s_endpgm
	.section	.rodata,"a",@progbits
	.p2align	6, 0x0
	.amdhsa_kernel bluestein_single_back_len1650_dim1_dp_op_CI_CI
		.amdhsa_group_segment_fixed_size 26400
		.amdhsa_private_segment_fixed_size 0
		.amdhsa_kernarg_size 104
		.amdhsa_user_sgpr_count 2
		.amdhsa_user_sgpr_dispatch_ptr 0
		.amdhsa_user_sgpr_queue_ptr 0
		.amdhsa_user_sgpr_kernarg_segment_ptr 1
		.amdhsa_user_sgpr_dispatch_id 0
		.amdhsa_user_sgpr_kernarg_preload_length 0
		.amdhsa_user_sgpr_kernarg_preload_offset 0
		.amdhsa_user_sgpr_private_segment_size 0
		.amdhsa_uses_dynamic_stack 0
		.amdhsa_enable_private_segment 0
		.amdhsa_system_sgpr_workgroup_id_x 1
		.amdhsa_system_sgpr_workgroup_id_y 0
		.amdhsa_system_sgpr_workgroup_id_z 0
		.amdhsa_system_sgpr_workgroup_info 0
		.amdhsa_system_vgpr_workitem_id 0
		.amdhsa_next_free_vgpr 439
		.amdhsa_next_free_sgpr 40
		.amdhsa_accum_offset 256
		.amdhsa_reserve_vcc 1
		.amdhsa_float_round_mode_32 0
		.amdhsa_float_round_mode_16_64 0
		.amdhsa_float_denorm_mode_32 3
		.amdhsa_float_denorm_mode_16_64 3
		.amdhsa_dx10_clamp 1
		.amdhsa_ieee_mode 1
		.amdhsa_fp16_overflow 0
		.amdhsa_tg_split 0
		.amdhsa_exception_fp_ieee_invalid_op 0
		.amdhsa_exception_fp_denorm_src 0
		.amdhsa_exception_fp_ieee_div_zero 0
		.amdhsa_exception_fp_ieee_overflow 0
		.amdhsa_exception_fp_ieee_underflow 0
		.amdhsa_exception_fp_ieee_inexact 0
		.amdhsa_exception_int_div_zero 0
	.end_amdhsa_kernel
	.text
.Lfunc_end0:
	.size	bluestein_single_back_len1650_dim1_dp_op_CI_CI, .Lfunc_end0-bluestein_single_back_len1650_dim1_dp_op_CI_CI
                                        ; -- End function
	.section	.AMDGPU.csdata,"",@progbits
; Kernel info:
; codeLenInByte = 31044
; NumSgprs: 46
; NumVgprs: 256
; NumAgprs: 183
; TotalNumVgprs: 439
; ScratchSize: 0
; MemoryBound: 0
; FloatMode: 240
; IeeeMode: 1
; LDSByteSize: 26400 bytes/workgroup (compile time only)
; SGPRBlocks: 5
; VGPRBlocks: 54
; NumSGPRsForWavesPerEU: 46
; NumVGPRsForWavesPerEU: 439
; AccumOffset: 256
; Occupancy: 1
; WaveLimiterHint : 1
; COMPUTE_PGM_RSRC2:SCRATCH_EN: 0
; COMPUTE_PGM_RSRC2:USER_SGPR: 2
; COMPUTE_PGM_RSRC2:TRAP_HANDLER: 0
; COMPUTE_PGM_RSRC2:TGID_X_EN: 1
; COMPUTE_PGM_RSRC2:TGID_Y_EN: 0
; COMPUTE_PGM_RSRC2:TGID_Z_EN: 0
; COMPUTE_PGM_RSRC2:TIDIG_COMP_CNT: 0
; COMPUTE_PGM_RSRC3_GFX90A:ACCUM_OFFSET: 63
; COMPUTE_PGM_RSRC3_GFX90A:TG_SPLIT: 0
	.text
	.p2alignl 6, 3212836864
	.fill 256, 4, 3212836864
	.type	__hip_cuid_53597d366e6c489b,@object ; @__hip_cuid_53597d366e6c489b
	.section	.bss,"aw",@nobits
	.globl	__hip_cuid_53597d366e6c489b
__hip_cuid_53597d366e6c489b:
	.byte	0                               ; 0x0
	.size	__hip_cuid_53597d366e6c489b, 1

	.ident	"AMD clang version 19.0.0git (https://github.com/RadeonOpenCompute/llvm-project roc-6.4.0 25133 c7fe45cf4b819c5991fe208aaa96edf142730f1d)"
	.section	".note.GNU-stack","",@progbits
	.addrsig
	.addrsig_sym __hip_cuid_53597d366e6c489b
	.amdgpu_metadata
---
amdhsa.kernels:
  - .agpr_count:     183
    .args:
      - .actual_access:  read_only
        .address_space:  global
        .offset:         0
        .size:           8
        .value_kind:     global_buffer
      - .actual_access:  read_only
        .address_space:  global
        .offset:         8
        .size:           8
        .value_kind:     global_buffer
      - .actual_access:  read_only
        .address_space:  global
        .offset:         16
        .size:           8
        .value_kind:     global_buffer
      - .actual_access:  read_only
        .address_space:  global
        .offset:         24
        .size:           8
        .value_kind:     global_buffer
      - .actual_access:  read_only
        .address_space:  global
        .offset:         32
        .size:           8
        .value_kind:     global_buffer
      - .offset:         40
        .size:           8
        .value_kind:     by_value
      - .address_space:  global
        .offset:         48
        .size:           8
        .value_kind:     global_buffer
      - .address_space:  global
        .offset:         56
        .size:           8
        .value_kind:     global_buffer
      - .address_space:  global
        .offset:         64
        .size:           8
        .value_kind:     global_buffer
      - .address_space:  global
        .offset:         72
        .size:           8
        .value_kind:     global_buffer
      - .offset:         80
        .size:           4
        .value_kind:     by_value
      - .address_space:  global
        .offset:         88
        .size:           8
        .value_kind:     global_buffer
      - .address_space:  global
        .offset:         96
        .size:           8
        .value_kind:     global_buffer
    .group_segment_fixed_size: 26400
    .kernarg_segment_align: 8
    .kernarg_segment_size: 104
    .language:       OpenCL C
    .language_version:
      - 2
      - 0
    .max_flat_workgroup_size: 110
    .name:           bluestein_single_back_len1650_dim1_dp_op_CI_CI
    .private_segment_fixed_size: 0
    .sgpr_count:     46
    .sgpr_spill_count: 0
    .symbol:         bluestein_single_back_len1650_dim1_dp_op_CI_CI.kd
    .uniform_work_group_size: 1
    .uses_dynamic_stack: false
    .vgpr_count:     439
    .vgpr_spill_count: 0
    .wavefront_size: 64
amdhsa.target:   amdgcn-amd-amdhsa--gfx950
amdhsa.version:
  - 1
  - 2
...

	.end_amdgpu_metadata
